;; amdgpu-corpus repo=zjin-lcf/HeCBench kind=compiled arch=gfx1030 opt=O3
	.amdgcn_target "amdgcn-amd-amdhsa--gfx1030"
	.amdhsa_code_object_version 6
	.text
	.p2align	2                               ; -- Begin function _Z17MT_generate_arrayv
	.type	_Z17MT_generate_arrayv,@function
_Z17MT_generate_arrayv:                 ; @_Z17MT_generate_arrayv
; %bb.0:
	s_waitcnt vmcnt(0) expcnt(0) lgkmcnt(0)
	v_bfe_u32 v4, v31, 5, 5
	v_and_b32_e32 v5, 31, v31
	s_mov_b32 s6, exec_lo
	v_lshlrev_b32_e32 v0, 4, v4
	ds_read_b128 v[0:3], v0 offset:17280
	s_waitcnt lgkmcnt(0)
	v_sub_nc_u32_e32 v6, 0x65, v0
	v_min_i32_e32 v7, 0x60, v6
	v_lshl_add_u32 v6, v4, 7, 0x3140
	v_cmpx_lt_u32_e64 v5, v7
	s_cbranch_execz .LBB0_3
; %bb.1:
	v_lshlrev_b32_e32 v10, 2, v0
	s_mov_b64 s[4:5], src_shared_base
	s_movk_i32 s4, 0x180
	v_mul_u32_u24_e32 v8, 0x194, v4
	v_lshlrev_b32_e32 v9, 2, v5
	v_mad_u32_u24 v10, 0x194, v4, v10
	v_mad_u32_u24 v11, v4, s4, 0x1940
	v_mov_b32_e32 v12, v5
	s_mov_b32 s4, 0
.LBB0_2:                                ; =>This Inner Loop Header: Depth=1
	v_add_nc_u32_e32 v13, v8, v9
	v_mov_b32_e32 v14, s5
	v_mov_b32_e32 v16, s5
	v_add_nc_u32_e32 v17, v10, v9
	v_mov_b32_e32 v18, s5
	v_add_nc_u32_e32 v15, 4, v13
	flat_load_dword v19, v[13:14] glc dlc
	s_waitcnt vmcnt(0)
	v_add_nc_u32_e32 v12, 32, v12
	v_add_nc_u32_e32 v10, 0x80, v10
	;; [unrolled: 1-line block ×3, first 2 shown]
	flat_load_dword v15, v[15:16] glc dlc
	s_waitcnt vmcnt(0)
	flat_load_dword v16, v[17:18] glc dlc
	s_waitcnt vmcnt(0)
	v_cmp_ge_u32_e32 vcc_lo, v12, v7
	s_or_b32 s4, vcc_lo, s4
	s_waitcnt lgkmcnt(2)
	v_and_b32_e32 v18, v19, v3
	s_waitcnt lgkmcnt(0)
	v_lshrrev_b32_e32 v16, v2, v16
	v_xor_b32_e32 v15, v18, v15
	v_lshlrev_b32_e32 v18, v1, v15
	v_xor3_b32 v18, v16, v18, v15
	v_add_nc_u32_e32 v15, -4, v17
	v_mov_b32_e32 v16, s5
	v_and_b32_e32 v19, 15, v18
	v_lshl_add_u32 v17, v19, 2, v6
	ds_read_b32 v17, v17
	flat_load_dword v15, v[15:16] glc dlc
	s_waitcnt vmcnt(0) lgkmcnt(1)
	v_xor_b32_e32 v17, v18, v17
	s_waitcnt lgkmcnt(0)
	v_xor_b32_sdwa v15, v15, v15 dst_sel:DWORD dst_unused:UNUSED_PAD src0_sel:WORD_1 src1_sel:DWORD
	v_lshrrev_b32_e32 v16, 8, v15
	v_xor_b32_e32 v15, v16, v15
	v_lshrrev_b32_e32 v16, 9, v17
	v_and_b32_e32 v15, 15, v15
	v_lshl_add_u32 v15, v15, 2, v6
	ds_read_b32 v15, v15 offset:64
	s_waitcnt lgkmcnt(0)
	v_xor_b32_e32 v16, v16, v15
	v_add_nc_u32_e32 v15, v11, v9
	v_add_nc_u32_e32 v11, 0x80, v11
	v_or_b32_e32 v18, 1, v16
	v_mov_b32_e32 v16, s5
	v_add_f32_e32 v18, -1.0, v18
	flat_store_dword v[15:16], v18
	s_waitcnt_vscnt null, 0x0
	flat_store_dword v[13:14], v17
	s_waitcnt_vscnt null, 0x0
	s_andn2_b32 exec_lo, exec_lo, s4
	s_cbranch_execnz .LBB0_2
.LBB0_3:
	s_or_b32 exec_lo, exec_lo, s6
	v_add_nc_u32_e32 v8, v7, v5
	s_mov_b32 s6, exec_lo
	v_cmpx_gt_i32_e32 0x65, v8
	s_cbranch_execz .LBB0_8
; %bb.4:
	v_add_nc_u32_e32 v7, v0, v7
	v_mul_u32_u24_e32 v9, 0x180, v4
	v_lshlrev_b32_e32 v11, 2, v8
	v_subrev_nc_u32_e32 v10, 32, v8
	s_mov_b64 s[4:5], src_shared_base
	v_add_lshl_u32 v5, v7, v5, 2
	s_mov_b32 s4, 0
	v_add3_u32 v7, v9, v11, 0x1940
	v_mad_u32_u24 v9, 0x194, v4, v11
	s_mov_b32 s7, 0
	v_mad_u32_u24 v8, 0x194, v4, v5
	s_branch .LBB0_6
.LBB0_5:                                ;   in Loop: Header=BB0_6 Depth=1
	s_or_b32 exec_lo, exec_lo, s8
	v_cmp_lt_i32_e32 vcc_lo, 0x44, v10
	s_addk_i32 s7, 0x80
	flat_store_dword v[4:5], v11
	s_waitcnt_vscnt null, 0x0
	s_or_b32 s4, vcc_lo, s4
	s_andn2_b32 exec_lo, exec_lo, s4
	s_cbranch_execz .LBB0_8
.LBB0_6:                                ; =>This Inner Loop Header: Depth=1
	v_mov_b32_e32 v16, v10
	v_add_nc_u32_e32 v4, s7, v9
	v_mov_b32_e32 v5, s5
	v_add_nc_u32_e32 v13, s7, v8
	;; [unrolled: 2-line block ×3, first 2 shown]
	v_cmp_eq_u32_e32 vcc_lo, 0x44, v16
	flat_load_dword v17, v[4:5] glc dlc
	s_waitcnt vmcnt(0)
	v_mov_b32_e32 v15, s5
	s_mov_b32 s8, exec_lo
	v_add_nc_u32_e32 v14, 32, v12
	v_cndmask_b32_e64 v10, 0, 0xfffffe6c, vcc_lo
	v_cmp_gt_u32_e32 vcc_lo, 0x65, v14
	v_add3_u32 v10, v4, v10, 4
	v_cndmask_b32_e64 v14, 0xfffffe6c, 0, vcc_lo
	flat_load_dword v10, v[10:11] glc dlc
	s_waitcnt vmcnt(0)
	v_add_nc_u32_e32 v14, v13, v14
	flat_load_dword v11, v[14:15] glc dlc
	s_waitcnt vmcnt(0) lgkmcnt(2)
	v_and_b32_e32 v14, v17, v3
	s_waitcnt lgkmcnt(1)
	v_xor_b32_e32 v10, v14, v10
	v_lshlrev_b32_e32 v14, v1, v10
	s_waitcnt lgkmcnt(0)
	v_lshrrev_b32_e32 v11, v2, v11
	v_xor3_b32 v11, v11, v14, v10
	v_and_b32_e32 v10, 15, v11
	v_lshl_add_u32 v10, v10, 2, v6
	ds_read_b32 v14, v10
	v_add_nc_u32_e32 v10, 32, v16
	s_waitcnt lgkmcnt(0)
	v_xor_b32_e32 v11, v11, v14
	v_cmpx_gt_i32_e32 0x60, v10
	s_cbranch_execz .LBB0_5
; %bb.7:                                ;   in Loop: Header=BB0_6 Depth=1
	v_add_nc_u32_e32 v12, 31, v12
	v_mov_b32_e32 v14, s5
	v_cmp_gt_u32_e32 vcc_lo, 0x65, v12
	v_cndmask_b32_e64 v12, 0xfffffe6c, 0, vcc_lo
	v_add3_u32 v13, v13, v12, -4
	flat_load_dword v12, v[13:14] glc dlc
	s_waitcnt vmcnt(0) lgkmcnt(0)
	v_xor_b32_sdwa v12, v12, v12 dst_sel:DWORD dst_unused:UNUSED_PAD src0_sel:WORD_1 src1_sel:DWORD
	v_lshrrev_b32_e32 v13, 8, v12
	v_xor_b32_e32 v12, v13, v12
	v_lshrrev_b32_e32 v13, 9, v11
	v_and_b32_e32 v12, 15, v12
	v_lshl_add_u32 v12, v12, 2, v6
	ds_read_b32 v12, v12 offset:64
	s_waitcnt lgkmcnt(0)
	v_xor_b32_e32 v12, v12, v13
	v_add_nc_u32_e32 v13, s7, v7
	v_or_b32_e32 v12, 1, v12
	v_add_f32_e32 v12, -1.0, v12
	flat_store_dword v[13:14], v12
	s_waitcnt_vscnt null, 0x0
	s_branch .LBB0_5
.LBB0_8:
	s_or_b32 exec_lo, exec_lo, s6
	s_waitcnt lgkmcnt(0)
	s_setpc_b64 s[30:31]
.Lfunc_end0:
	.size	_Z17MT_generate_arrayv, .Lfunc_end0-_Z17MT_generate_arrayv
                                        ; -- End function
	.set .L_Z17MT_generate_arrayv.num_vgpr, 32
	.set .L_Z17MT_generate_arrayv.num_agpr, 0
	.set .L_Z17MT_generate_arrayv.numbered_sgpr, 32
	.set .L_Z17MT_generate_arrayv.num_named_barrier, 0
	.set .L_Z17MT_generate_arrayv.private_seg_size, 0
	.set .L_Z17MT_generate_arrayv.uses_vcc, 1
	.set .L_Z17MT_generate_arrayv.uses_flat_scratch, 0
	.set .L_Z17MT_generate_arrayv.has_dyn_sized_stack, 0
	.set .L_Z17MT_generate_arrayv.has_recursion, 0
	.set .L_Z17MT_generate_arrayv.has_indirect_call, 0
	.section	.AMDGPU.csdata,"",@progbits
; Function info:
; codeLenInByte = 884
; TotalNumSgprs: 34
; NumVgprs: 32
; ScratchSize: 0
; MemoryBound: 0
	.text
	.protected	_Z22simulation_step_kernelbb ; -- Begin function _Z22simulation_step_kernelbb
	.globl	_Z22simulation_step_kernelbb
	.p2align	8
	.type	_Z22simulation_step_kernelbb,@function
_Z22simulation_step_kernelbb:           ; @_Z22simulation_step_kernelbb
; %bb.0:
	s_add_u32 s0, s0, s8
	s_load_dword s8, s[4:5], 0x8
	s_mov_b64 s[10:11], s[4:5]
	s_addc_u32 s1, s1, 0
	s_add_u32 s4, s10, 8
	s_addc_u32 s5, s11, 0
	v_mov_b32_e32 v1, 0
	s_mov_b32 s29, 0
	v_mov_b32_e32 v31, v0
	s_mov_b32 s13, exec_lo
	s_movk_i32 s32, 0xe00
	s_waitcnt lgkmcnt(0)
	s_mul_i32 s7, s8, s7
	s_add_i32 s28, s7, s6
	s_cmp_lt_u32 s6, s8
	s_cselect_b32 s6, 12, 18
	s_add_u32 s6, s4, s6
	s_addc_u32 s7, s5, 0
	global_load_ushort v2, v1, s[6:7]
	s_getpc_b64 s[6:7]
	s_add_u32 s6, s6, detector@rel32@lo+28
	s_addc_u32 s7, s7, detector@rel32@hi+36
	s_getpc_b64 s[8:9]
	s_add_u32 s8, s8, detector_scores_count@rel32@lo+4
	s_addc_u32 s9, s9, detector_scores_count@rel32@hi+12
	s_load_dwordx2 s[6:7], s[6:7], 0x0
	s_lshl_b64 s[14:15], s[28:29], 5
	s_add_u32 s52, s8, s14
	s_addc_u32 s53, s9, s15
	s_getpc_b64 s[8:9]
	s_add_u32 s8, s8, detector_scores_energy@rel32@lo+4
	s_addc_u32 s9, s9, detector_scores_energy@rel32@hi+12
	s_add_u32 s54, s8, s14
	s_addc_u32 s55, s9, s15
	s_waitcnt lgkmcnt(0)
	s_mul_i32 s12, s7, s6
	v_cmpx_gt_u32_e64 s12, v31
	s_cbranch_execz .LBB1_9
; %bb.1:
	s_load_dword s4, s[4:5], 0xc
	s_load_dwordx2 s[6:7], s[52:53], 0x0
	s_load_dwordx2 s[8:9], s[54:55], 0x0
	v_mov_b32_e32 v0, v31
	s_mov_b32 s14, s29
	s_waitcnt lgkmcnt(0)
	s_and_b32 s5, s4, 0xffff
	.p2align	6
.LBB1_2:                                ; =>This Inner Loop Header: Depth=1
	v_lshlrev_b64 v[3:4], 2, v[0:1]
	v_add_nc_u32_e32 v0, s5, v0
	v_cmp_le_u32_e32 vcc_lo, s12, v0
	v_add_co_u32 v5, s4, s6, v3
	v_add_co_ci_u32_e64 v6, null, s7, v4, s4
	v_add_co_u32 v3, s4, s8, v3
	v_add_co_ci_u32_e64 v4, null, s9, v4, s4
	s_or_b32 s14, vcc_lo, s14
	global_store_dword v[5:6], v1, off
	global_store_dword v[3:4], v1, off
	s_andn2_b32 exec_lo, exec_lo, s14
	s_cbranch_execnz .LBB1_2
; %bb.3:
	s_or_b32 exec_lo, exec_lo, s14
	s_load_dwordx2 s[6:7], s[52:53], 0x8
	s_load_dwordx2 s[8:9], s[54:55], 0x8
	v_mov_b32_e32 v1, 0
	v_mov_b32_e32 v0, v31
	s_mov_b32 s14, 0
	.p2align	6
.LBB1_4:                                ; =>This Inner Loop Header: Depth=1
	v_lshlrev_b64 v[3:4], 2, v[0:1]
	v_add_nc_u32_e32 v0, s5, v0
	v_cmp_le_u32_e32 vcc_lo, s12, v0
	s_waitcnt lgkmcnt(0)
	v_add_co_u32 v5, s4, s6, v3
	v_add_co_ci_u32_e64 v6, null, s7, v4, s4
	v_add_co_u32 v3, s4, s8, v3
	v_add_co_ci_u32_e64 v4, null, s9, v4, s4
	s_or_b32 s14, vcc_lo, s14
	global_store_dword v[5:6], v1, off
	global_store_dword v[3:4], v1, off
	s_andn2_b32 exec_lo, exec_lo, s14
	s_cbranch_execnz .LBB1_4
; %bb.5:
	s_or_b32 exec_lo, exec_lo, s14
	s_load_dwordx2 s[6:7], s[52:53], 0x10
	s_load_dwordx2 s[8:9], s[54:55], 0x10
	v_mov_b32_e32 v1, 0
	v_mov_b32_e32 v0, v31
	s_mov_b32 s14, 0
	.p2align	6
.LBB1_6:                                ; =>This Inner Loop Header: Depth=1
	v_lshlrev_b64 v[3:4], 2, v[0:1]
	v_add_nc_u32_e32 v0, s5, v0
	v_cmp_le_u32_e32 vcc_lo, s12, v0
	s_waitcnt lgkmcnt(0)
	v_add_co_u32 v5, s4, s6, v3
	v_add_co_ci_u32_e64 v6, null, s7, v4, s4
	v_add_co_u32 v3, s4, s8, v3
	v_add_co_ci_u32_e64 v4, null, s9, v4, s4
	s_or_b32 s14, vcc_lo, s14
	global_store_dword v[5:6], v1, off
	global_store_dword v[3:4], v1, off
	s_andn2_b32 exec_lo, exec_lo, s14
	s_cbranch_execnz .LBB1_6
; %bb.7:
	s_or_b32 exec_lo, exec_lo, s14
	s_load_dwordx2 s[6:7], s[52:53], 0x18
	s_load_dwordx2 s[8:9], s[54:55], 0x18
	v_mov_b32_e32 v1, 0
	v_mov_b32_e32 v0, v31
	s_mov_b32 s14, 0
	.p2align	6
.LBB1_8:                                ; =>This Inner Loop Header: Depth=1
	v_lshlrev_b64 v[3:4], 2, v[0:1]
	v_add_nc_u32_e32 v0, s5, v0
	v_cmp_le_u32_e32 vcc_lo, s12, v0
	s_waitcnt lgkmcnt(0)
	v_add_co_u32 v5, s4, s6, v3
	v_add_co_ci_u32_e64 v6, null, s7, v4, s4
	v_add_co_u32 v3, s4, s8, v3
	v_add_co_ci_u32_e64 v4, null, s9, v4, s4
	s_or_b32 s14, vcc_lo, s14
	global_store_dword v[5:6], v1, off
	global_store_dword v[3:4], v1, off
	s_andn2_b32 exec_lo, exec_lo, s14
	s_cbranch_execnz .LBB1_8
.LBB1_9:
	s_or_b32 exec_lo, exec_lo, s13
	v_lshrrev_b32_e32 v22, 5, v31
	v_and_b32_e32 v30, 31, v31
	s_mov_b32 s4, exec_lo
	s_waitcnt vmcnt(0)
	s_waitcnt_vscnt null, 0x0
	s_barrier
	v_mad_u32_u24 v42, v22, 36, 0x4140
	buffer_gl0_inv
	v_cmpx_gt_u16_e32 9, v30
	s_cbranch_execz .LBB1_11
; %bb.10:
	s_mov_b64 s[6:7], src_shared_base
	v_lshl_add_u32 v0, v30, 2, v42
	v_mov_b32_e32 v1, s7
	v_mov_b32_e32 v3, 0
	flat_store_dword v[0:1], v3
	s_waitcnt_vscnt null, 0x0
.LBB1_11:
	s_or_b32 exec_lo, exec_lo, s4
	v_cmp_eq_u16_e64 s12, 0, v30
	v_lshlrev_b32_e32 v20, 2, v22
	v_lshl_add_u32 v44, v22, 3, 0x4480
	s_and_saveexec_b32 s4, s12
	s_cbranch_execz .LBB1_13
; %bb.12:
	v_mov_b32_e32 v0, 0
	s_mov_b64 s[6:7], src_shared_base
	v_or_b32_e32 v5, 0x4500, v20
	v_mov_b32_e32 v45, s7
	v_mov_b32_e32 v6, s7
	;; [unrolled: 1-line block ×4, first 2 shown]
	v_add_nc_u32_e32 v3, 0x4540, v20
	flat_store_dwordx2 v[44:45], v[0:1]
	s_waitcnt_vscnt null, 0x0
	flat_store_dword v[5:6], v0
	s_waitcnt_vscnt null, 0x0
	flat_store_dword v[3:4], v0
	s_waitcnt_vscnt null, 0x0
.LBB1_13:
	s_or_b32 exec_lo, exec_lo, s4
	v_lshl_add_u32 v46, s28, 4, v22
	v_or_b32_e32 v48, 0x4580, v22
	s_and_saveexec_b32 s4, s12
	s_cbranch_execz .LBB1_15
; %bb.14:
	s_getpc_b64 s[8:9]
	s_add_u32 s8, s8, MT_params@rel32@lo+4
	s_addc_u32 s9, s9, MT_params@rel32@hi+12
	v_mov_b32_e32 v47, 0
	s_load_dwordx2 s[8:9], s[8:9], 0x0
	s_mov_b64 s[6:7], src_shared_base
	v_mov_b32_e32 v49, s7
	v_lshlrev_b64 v[0:1], 4, v[46:47]
	s_waitcnt lgkmcnt(0)
	v_add_co_u32 v0, vcc_lo, s8, v0
	v_add_co_ci_u32_e64 v1, null, s9, v1, vcc_lo
	global_load_dwordx4 v[3:6], v[0:1], off
	v_lshlrev_b32_e32 v0, 4, v22
	v_add_nc_u32_e32 v1, 0x4388, v0
	v_add_nc_u32_e32 v0, 0x4380, v0
	s_waitcnt vmcnt(0)
	ds_write2_b32 v1, v5, v6 offset1:1
	ds_write2_b32 v0, v3, v4 offset1:1
	flat_store_byte v[48:49], v47
	s_waitcnt_vscnt null, 0x0
.LBB1_15:
	s_or_b32 exec_lo, exec_lo, s4
	s_getpc_b64 s[4:5]
	s_add_u32 s4, s4, MT_statuses@rel32@lo+4
	s_addc_u32 s5, s5, MT_statuses@rel32@hi+12
	v_lshlrev_b32_e32 v21, 2, v30
	s_load_dwordx2 s[34:35], s[4:5], 0x0
	v_lshlrev_b32_e32 v3, 7, v46
	v_mov_b32_e32 v1, 0
	v_mov_b32_e32 v5, v30
	v_mad_u32_u24 v40, 0x194, v22, v21
	s_mov_b32 s4, 0
	v_mov_b32_e32 v4, v40
	.p2align	6
.LBB1_16:                               ; =>This Inner Loop Header: Depth=1
	v_add_nc_u32_e32 v0, v3, v5
	v_lshlrev_b64 v[6:7], 2, v[0:1]
	s_waitcnt lgkmcnt(0)
	v_add_co_u32 v6, vcc_lo, s34, v6
	v_add_co_ci_u32_e64 v7, null, s35, v7, vcc_lo
	v_cmp_lt_u32_e32 vcc_lo, 0x44, v5
	global_load_dword v0, v[6:7], off
	v_add_nc_u32_e32 v6, 32, v5
	s_or_b32 s4, vcc_lo, s4
	v_mov_b32_e32 v5, v6
	s_waitcnt vmcnt(0)
	ds_write_b32 v4, v0
	v_add_nc_u32_e32 v4, 0x80, v4
	s_andn2_b32 exec_lo, exec_lo, s4
	s_cbranch_execnz .LBB1_16
; %bb.17:
	s_or_b32 exec_lo, exec_lo, s4
	s_mov_b64 s[4:5], src_shared_base
	s_load_dword s4, s[10:11], 0x0
	v_mov_b32_e32 v47, 0
	v_mov_b32_e32 v66, 2
	v_lshlrev_b32_e32 v41, 7, v22
	v_mov_b32_e32 v43, s5
	s_mov_b32 s15, 0
	v_lshlrev_b64 v[0:1], 7, v[46:47]
	v_lshlrev_b32_sdwa v3, v66, v30 dst_sel:DWORD dst_unused:UNUSED_PAD src0_sel:DWORD src1_sel:WORD_0
	v_add_nc_u32_e32 v50, 0x3940, v41
	s_waitcnt lgkmcnt(0)
	s_bitcmp1_b32 s4, 0
	s_cselect_b32 s13, -1, 0
	s_bitcmp1_b32 s4, 8
	s_cselect_b32 s33, -1, 0
	s_getpc_b64 s[6:7]
	s_add_u32 s6, s6, MT_tables@rel32@lo+4
	s_addc_u32 s7, s7, MT_tables@rel32@hi+12
	s_add_u32 s8, s10, 8
	s_load_dwordx2 s[6:7], s[6:7], 0x0
	s_addc_u32 s9, s11, 0
	s_getpc_b64 s[4:5]
	s_add_u32 s4, s4, _Z17MT_generate_arrayv@rel32@lo+4
	s_addc_u32 s5, s5, _Z17MT_generate_arrayv@rel32@hi+12
	s_waitcnt lgkmcnt(0)
	v_add_co_u32 v0, vcc_lo, s6, v0
	v_add_co_ci_u32_e64 v1, null, s7, v1, vcc_lo
	v_add_co_u32 v0, vcc_lo, v0, v3
	v_add_co_ci_u32_e64 v1, null, 0, v1, vcc_lo
	global_load_dword v0, v[0:1], off
	v_and_b32_e32 v1, 0xffff, v2
	v_mad_u64_u32 v[23:24], null, s28, v1, v[31:32]
	v_or_b32_e32 v1, v41, v21
	s_waitcnt vmcnt(0)
	ds_write_b32 v1, v0 offset:12608
	s_swappc_b64 s[30:31], s[4:5]
	s_getpc_b64 s[8:9]
	s_add_u32 s8, s8, stack@rel32@lo+4
	s_addc_u32 s9, s9, stack@rel32@hi+12
	s_getpc_b64 s[16:17]
	s_add_u32 s16, s16, phantom@rel32@lo+4
	s_addc_u32 s17, s17, phantom@rel32@hi+12
	s_clause 0x1
	s_load_dwordx4 s[4:7], s[8:9], 0x0
	s_load_dwordx2 s[8:9], s[8:9], 0x10
	s_load_dwordx4 s[16:19], s[16:17], 0x0
	s_getpc_b64 s[24:25]
	s_add_u32 s24, s24, phantom@rel32@lo+20
	s_addc_u32 s25, s25, phantom@rel32@hi+28
	v_mov_b32_e32 v24, v47
	s_clause 0x1
	s_load_dwordx4 s[20:23], s[24:25], 0x0
	s_load_dwordx2 s[56:57], s[24:25], 0x10
	s_getpc_b64 s[26:27]
	s_add_u32 s26, s26, region_data@rel32@lo+4
	s_addc_u32 s27, s27, region_data@rel32@hi+12
	s_getpc_b64 s[30:31]
	s_add_u32 s30, s30, ge@rel32@lo+4
	s_addc_u32 s31, s31, ge@rel32@hi+12
	v_lshlrev_b64 v[0:1], 4, v[23:24]
	s_waitcnt lgkmcnt(0)
	s_mov_b32 s19, s15
	s_load_dwordx2 s[66:67], s[30:31], 0x0
	s_load_dwordx2 s[64:65], s[26:27], 0x0
	v_add_nc_u32_e32 v52, 0x4540, v20
	v_or_b32_e32 v56, 0x4500, v20
	v_add_nc_u32_e32 v58, v50, v21
	v_mov_b32_e32 v53, v43
	v_add_nc_u32_e32 v54, 8, v42
	v_mov_b32_e32 v55, v43
	v_mov_b32_e32 v57, v43
	v_add_co_u32 v6, vcc_lo, s4, v0
	v_add_co_ci_u32_e64 v7, null, s5, v1, vcc_lo
	v_add_co_u32 v8, vcc_lo, s6, v0
	v_add_co_ci_u32_e64 v9, null, s7, v1, vcc_lo
	v_add_co_u32 v10, vcc_lo, s8, v0
	s_mov_b32 s14, s16
	v_mul_u32_u24_e32 v0, 0x180, v22
	s_getpc_b64 s[6:7]
	s_add_u32 s6, s6, gmfp@rel32@lo+4
	s_addc_u32 s7, s7, gmfp@rel32@hi+12
	v_add_co_ci_u32_e64 v11, null, s9, v1, vcc_lo
	s_lshl_b64 s[8:9], s[14:15], 2
	s_getpc_b64 s[4:5]
	s_add_u32 s4, s4, cohe@rel32@lo+4
	s_addc_u32 s5, s5, cohe@rel32@hi+12
	s_mov_b32 s14, s17
	s_add_u32 s58, s20, s8
	s_addc_u32 s59, s21, s9
	s_lshl_b64 s[8:9], s[14:15], 2
	v_or_b32_e32 v0, v0, v21
	s_add_i32 s86, s16, -1
	s_add_u32 s60, s22, s8
	s_addc_u32 s61, s23, s9
	s_mul_i32 s93, s17, s16
	s_cmp_eq_u32 s17, 1
	v_add_nc_u32_e32 v67, 0x1940, v0
	v_cvt_f32_u32_e32 v0, s93
	s_cselect_b32 s87, -1, 0
	s_cmp_lt_i32 s17, 2
	v_cvt_f32_u32_e32 v1, s16
	s_cselect_b32 s88, -1, 0
	s_lshl_b64 s[8:9], s[18:19], 2
	v_rcp_iflag_f32_e32 v0, v0
	s_add_u32 s62, s56, s8
	s_addc_u32 s63, s57, s9
	s_cmp_eq_u32 s18, 1
	v_rcp_iflag_f32_e32 v1, v1
	s_cselect_b32 s19, -1, 0
	s_cmp_lt_i32 s18, 2
	s_load_dwordx2 s[68:69], s[6:7], 0x0
	s_cselect_b32 s89, -1, 0
	s_add_i32 s90, s17, -1
	s_cmp_eq_u32 s16, 1
	v_mul_f32_e32 v0, 0x4f7ffffe, v0
	s_cselect_b32 s91, -1, 0
	s_cmp_lt_i32 s16, 2
	v_mul_f32_e32 v1, 0x4f7ffffe, v1
	s_cselect_b32 s92, -1, 0
	s_getpc_b64 s[8:9]
	s_add_u32 s8, s8, detector@rel32@lo+4
	s_addc_u32 s9, s9, detector@rel32@hi+12
	s_getpc_b64 s[30:31]
	s_add_u32 s30, s30, detector@rel32@lo+20
	s_addc_u32 s31, s31, detector@rel32@hi+28
	s_getpc_b64 s[6:7]
	s_add_u32 s6, s6, gbr1@rel32@lo+4
	s_addc_u32 s7, s7, gbr1@rel32@hi+12
	s_getpc_b64 s[40:41]
	s_add_u32 s40, s40, gbr2@rel32@lo+4
	s_addc_u32 s41, s41, gbr2@rel32@hi+12
	s_clause 0x1
	s_load_dwordx4 s[24:27], s[8:9], 0x0
	s_load_dwordx4 s[36:39], s[30:31], 0x0
	s_load_dwordx2 s[70:71], s[4:5], 0x0
	s_waitcnt lgkmcnt(0)
	s_add_i32 s27, s18, -1
	v_cvt_u32_f32_e32 v0, v0
	s_getpc_b64 s[4:5]
	s_add_u32 s4, s4, source@rel32@lo+4
	s_addc_u32 s5, s5, source@rel32@hi+12
	s_load_dwordx2 s[72:73], s[6:7], 0x0
	s_load_dwordx2 s[74:75], s[40:41], 0x0
	s_getpc_b64 s[6:7]
	s_add_u32 s6, s6, source@rel32@lo+12
	s_addc_u32 s7, s7, source@rel32@hi+20
	s_sub_i32 s8, 0, s93
	v_cvt_u32_f32_e32 v1, v1
	v_mul_lo_u32 v2, s8, v0
	s_sub_i32 s9, 0, s16
	s_clause 0x1
	s_load_dword s4, s[4:5], 0x0
	s_load_dwordx4 s[40:43], s[6:7], 0x0
	v_mov_b32_e32 v59, v43
	v_mul_lo_u32 v3, s9, v1
	s_getpc_b64 s[8:9]
	s_add_u32 s8, s8, source@rel32@lo+36
	s_addc_u32 s9, s9, source@rel32@hi+44
	s_getpc_b64 s[30:31]
	s_add_u32 s30, s30, source@rel32@lo+68
	s_addc_u32 s31, s31, source@rel32@hi+76
	s_clause 0x1
	s_load_dwordx2 s[76:77], s[6:7], 0x10
	s_load_dwordx4 s[44:47], s[8:9], 0x0
	v_mul_hi_u32 v2, v0, v2
	s_clause 0x1
	s_load_dwordx2 s[78:79], s[8:9], 0x10
	s_load_dwordx4 s[48:51], s[30:31], 0x0
	s_getpc_b64 s[6:7]
	s_add_u32 s6, s6, pmax@rel32@lo+4
	s_addc_u32 s7, s7, pmax@rel32@hi+12
	v_cvt_f32_u32_e32 v4, s38
	v_mul_hi_u32 v3, v1, v3
	v_cvt_f32_u32_e32 v5, s39
	s_getpc_b64 s[8:9]
	s_add_u32 s8, s8, i_array@rel32@lo+4
	s_addc_u32 s9, s9, i_array@rel32@hi+12
	s_getpc_b64 s[30:31]
	s_add_u32 s30, s30, rayleigh_data@rel32@lo+4
	s_addc_u32 s31, s31, rayleigh_data@rel32@hi+12
	v_add_nc_u32_e32 v0, v0, v2
	v_add_nc_u32_e32 v62, 28, v42
	v_mov_b32_e32 v63, v43
	v_mov_b32_e32 v51, v43
	v_add_nc_u32_e32 v78, 0x394c, v41
	buffer_store_dword v0, off, s[0:3], 0 offset:4 ; 4-byte Folded Spill
	v_add_nc_u32_e32 v0, v1, v3
	v_mov_b32_e32 v1, v43
	v_mov_b32_e32 v79, v43
	v_add_nc_u32_e32 v80, 0x3950, v41
	v_mov_b32_e32 v81, v43
	buffer_store_dword v0, off, s[0:3], 0 offset:8 ; 4-byte Folded Spill
	v_mul_f32_e32 v0, 0.5, v4
	v_add_nc_u32_e32 v82, 0x3954, v41
	v_mov_b32_e32 v83, v43
	v_add_nc_u32_e32 v84, 0x3958, v41
	v_mov_b32_e32 v85, v43
	buffer_store_dword v0, off, s[0:3], 0 offset:68 ; 4-byte Folded Spill
	v_mul_f32_e32 v0, 0.5, v5
	v_add_nc_u32_e32 v86, 0x395c, v41
	v_mov_b32_e32 v87, v43
	v_add_nc_u32_e32 v88, 0x3960, v41
	v_mov_b32_e32 v89, v43
	buffer_store_dword v0, off, s[0:3], 0 offset:72 ; 4-byte Folded Spill
	v_add_nc_u32_e32 v0, 4, v42
	buffer_store_dword v0, off, s[0:3], 0 offset:28 ; 4-byte Folded Spill
	buffer_store_dword v1, off, s[0:3], 0 offset:32 ; 4-byte Folded Spill
	v_add_nc_u32_e32 v0, 16, v42
	v_add_nc_u32_e32 v90, 0x3964, v41
	v_mov_b32_e32 v91, v43
	v_add_nc_u32_e32 v92, 0x3968, v41
	v_mov_b32_e32 v93, v43
	;; [unrolled: 2-line block ×23, first 2 shown]
	s_waitcnt lgkmcnt(0)
	v_sub_f32_e64 v65, s47, s46
	v_cvt_f32_u32_e32 v74, s4
	v_mov_b32_e32 v49, v43
	v_mov_b32_e32 v45, v43
	buffer_store_dword v0, off, s[0:3], 0 offset:36 ; 4-byte Folded Spill
	buffer_store_dword v1, off, s[0:3], 0 offset:40 ; 4-byte Folded Spill
	v_add_nc_u32_e32 v0, 20, v42
	buffer_store_dword v0, off, s[0:3], 0 offset:76 ; 4-byte Folded Spill
	buffer_store_dword v1, off, s[0:3], 0 offset:80 ; 4-byte Folded Spill
	v_add_nc_u32_e32 v0, 12, v42
	s_load_dwordx2 s[80:81], s[6:7], 0x0
	s_load_dwordx2 s[82:83], s[8:9], 0x0
	;; [unrolled: 1-line block ×3, first 2 shown]
	buffer_store_dword v0, off, s[0:3], 0 offset:84 ; 4-byte Folded Spill
	buffer_store_dword v1, off, s[0:3], 0 offset:88 ; 4-byte Folded Spill
	v_add_nc_u32_e32 v0, 24, v42
	s_waitcnt lgkmcnt(0)
	s_add_u32 s51, s84, 20
	s_addc_u32 s94, s85, 0
	buffer_store_dword v0, off, s[0:3], 0 offset:92 ; 4-byte Folded Spill
	buffer_store_dword v1, off, s[0:3], 0 offset:96 ; 4-byte Folded Spill
	v_add_nc_u32_e32 v0, 0x3944, v41
	buffer_store_dword v0, off, s[0:3], 0 offset:12 ; 4-byte Folded Spill
	buffer_store_dword v1, off, s[0:3], 0 offset:16 ; 4-byte Folded Spill
	v_add_nc_u32_e32 v0, 0x3948, v41
	buffer_store_dword v0, off, s[0:3], 0 offset:20 ; 4-byte Folded Spill
	buffer_store_dword v1, off, s[0:3], 0 offset:24 ; 4-byte Folded Spill
	buffer_store_dword v6, off, s[0:3], 0 offset:44 ; 4-byte Folded Spill
	buffer_store_dword v7, off, s[0:3], 0 offset:48 ; 4-byte Folded Spill
	global_load_dwordx4 v[20:23], v[6:7], off
	s_waitcnt vmcnt(0)
	v_lshrrev_b32_e32 v0, 8, v20
	v_lshrrev_b32_e32 v64, 16, v20
	v_cndmask_b32_e64 v39, v20, 7, s13
	v_mov_b32_e32 v60, v23
	buffer_store_dword v0, off, s[0:3], 0   ; 4-byte Folded Spill
	buffer_store_dword v8, off, s[0:3], 0 offset:52 ; 4-byte Folded Spill
	buffer_store_dword v9, off, s[0:3], 0 offset:56 ; 4-byte Folded Spill
	global_load_dwordx4 v[32:35], v[8:9], off
	buffer_store_dword v10, off, s[0:3], 0 offset:60 ; 4-byte Folded Spill
	buffer_store_dword v11, off, s[0:3], 0 offset:64 ; 4-byte Folded Spill
	global_load_dwordx3 v[24:26], v[10:11], off
	s_waitcnt vmcnt(1)
	v_mov_b32_e32 v20, v33
	s_branch .LBB1_19
.LBB1_18:                               ;   in Loop: Header=BB1_19 Depth=1
	s_andn2_b32 vcc_lo, exec_lo, s47
	s_cbranch_vccz .LBB1_396
.LBB1_19:                               ; =>This Loop Header: Depth=1
                                        ;     Child Loop BB1_80 Depth 2
                                        ;     Child Loop BB1_87 Depth 2
	;; [unrolled: 1-line block ×20, first 2 shown]
                                        ;       Child Loop BB1_350 Depth 3
                                        ;         Child Loop BB1_359 Depth 4
	s_and_saveexec_b32 s4, s12
	s_cbranch_execz .LBB1_21
; %bb.20:                               ;   in Loop: Header=BB1_19 Depth=1
	flat_load_dword v0, v[52:53] glc dlc
	s_waitcnt vmcnt(0) lgkmcnt(0)
	v_add_nc_u32_e32 v0, 1, v0
	flat_store_dword v[52:53], v0
	s_waitcnt_vscnt null, 0x0
.LBB1_21:                               ;   in Loop: Header=BB1_19 Depth=1
	s_or_b32 exec_lo, exec_lo, s4
	v_mov_b32_e32 v0, 8
	v_cmp_ne_u16_sdwa s4, v39, v0 src0_sel:BYTE_0 src1_sel:DWORD
	s_or_b32 vcc_lo, s33, s4
	v_cndmask_b32_e32 v39, 7, v39, vcc_lo
	v_cmp_eq_u16_sdwa s13, v39, v66 src0_sel:BYTE_0 src1_sel:DWORD
	s_mov_b32 vcc_lo, s13
	s_cbranch_vccz .LBB1_173
; %bb.22:                               ;   in Loop: Header=BB1_19 Depth=1
	v_mov_b32_e32 v61, v47
	v_lshlrev_b64 v[0:1], 4, v[60:61]
	v_add_co_u32 v0, vcc_lo, s64, v0
	v_add_co_ci_u32_e64 v1, null, s65, v1, vcc_lo
	global_load_dwordx3 v[27:29], v[0:1], off
	s_and_saveexec_b32 s4, s13
	s_cbranch_execz .LBB1_28
; %bb.23:                               ;   in Loop: Header=BB1_19 Depth=1
	v_mov_b32_e32 v39, 0
	s_mov_b32 s5, exec_lo
	s_waitcnt vmcnt(0)
	v_cmpx_nle_f32_e32 v21, v29
	s_cbranch_execz .LBB1_27
; %bb.24:                               ;   in Loop: Header=BB1_19 Depth=1
	v_mov_b32_e32 v39, 2
	s_mov_b32 s6, exec_lo
	v_cmpx_ge_f32_e32 0, v22
; %bb.25:                               ;   in Loop: Header=BB1_19 Depth=1
	v_mov_b32_e32 v39, 1
; %bb.26:                               ;   in Loop: Header=BB1_19 Depth=1
	s_or_b32 exec_lo, exec_lo, s6
.LBB1_27:                               ;   in Loop: Header=BB1_19 Depth=1
	s_or_b32 exec_lo, exec_lo, s5
.LBB1_28:                               ;   in Loop: Header=BB1_19 Depth=1
	s_or_b32 exec_lo, exec_lo, s4
	flat_load_ubyte v0, v[48:49] glc dlc
	s_waitcnt vmcnt(0) lgkmcnt(0)
	v_cmp_lt_u32_e32 vcc_lo, 1, v0
	v_add_nc_u32_e32 v0, 1, v0
	s_and_saveexec_b32 s14, vcc_lo
	s_cbranch_execz .LBB1_30
; %bb.29:                               ;   in Loop: Header=BB1_19 Depth=1
	s_add_u32 s8, s10, 8
	s_addc_u32 s9, s11, 0
	s_getpc_b64 s[4:5]
	s_add_u32 s4, s4, _Z17MT_generate_arrayv@rel32@lo+4
	s_addc_u32 s5, s5, _Z17MT_generate_arrayv@rel32@hi+12
	s_swappc_b64 s[30:31], s[4:5]
	v_mov_b32_e32 v0, 0
.LBB1_30:                               ;   in Loop: Header=BB1_19 Depth=1
	s_or_b32 exec_lo, exec_lo, s14
	s_and_saveexec_b32 s4, s12
	s_cbranch_execz .LBB1_32
; %bb.31:                               ;   in Loop: Header=BB1_19 Depth=1
	flat_store_byte v[48:49], v0
	s_waitcnt_vscnt null, 0x0
.LBB1_32:                               ;   in Loop: Header=BB1_19 Depth=1
	s_or_b32 exec_lo, exec_lo, s4
	v_lshl_add_u32 v0, v0, 7, v67
	v_cmp_gt_f32_e64 s4, 0x800000, v21
	v_lshrrev_b32_e32 v61, 16, v27
	v_mov_b32_e32 v33, 0
	v_mov_b32_e32 v46, v27
	ds_read_b32 v0, v0
	v_cndmask_b32_e64 v2, 0, 32, s4
	v_mov_b32_e32 v38, 0
	s_waitcnt lgkmcnt(0)
	v_cmp_gt_f32_e32 vcc_lo, 0x800000, v0
	v_cndmask_b32_e64 v1, 0, 32, vcc_lo
	v_cndmask_b32_e64 v4, 0, 0x41b17218, vcc_lo
	v_ldexp_f32 v0, v0, v1
	v_ldexp_f32 v1, v21, v2
	v_log_f32_e32 v0, v0
	v_log_f32_e32 v1, v1
	v_mul_f32_e32 v2, 0x3f317217, v0
	v_mul_f32_e32 v3, 0x3f317217, v1
	v_cmp_gt_f32_e64 vcc_lo, 0x7f800000, |v0|
	v_fma_f32 v2, 0x3f317217, v0, -v2
	v_fma_f32 v3, 0x3f317217, v1, -v3
	v_fmac_f32_e32 v2, 0x3377d1cf, v0
	v_fmac_f32_e32 v3, 0x3377d1cf, v1
	;; [unrolled: 1-line block ×4, first 2 shown]
	v_cndmask_b32_e32 v0, v0, v2, vcc_lo
	v_cmp_gt_f32_e64 vcc_lo, 0x7f800000, |v1|
	v_cndmask_b32_e64 v2, 0, 0x41b17218, s4
	v_cmp_eq_u16_sdwa s4, v39, v66 src0_sel:BYTE_0 src1_sel:DWORD
	v_sub_f32_e32 v6, v0, v4
	v_cndmask_b32_e32 v1, v1, v3, vcc_lo
	s_and_b32 s4, s13, s4
	v_xor_b32_e32 v5, 0x80000000, v6
	v_sub_f32_e32 v23, v1, v2
	s_and_saveexec_b32 s7, s4
	s_cbranch_execz .LBB1_156
; %bb.33:                               ;   in Loop: Header=BB1_19 Depth=1
	v_cmp_eq_u16_e64 s4, -1, v27
	v_cmp_ne_u16_e64 s5, -1, v27
	v_mov_b32_e32 v8, 0x4cbebc20
	v_mov_b32_e32 v7, 0
	;; [unrolled: 1-line block ×4, first 2 shown]
	s_and_saveexec_b32 s6, s5
	s_cbranch_execz .LBB1_37
; %bb.34:                               ;   in Loop: Header=BB1_19 Depth=1
	v_and_b32_e32 v2, 0xffff, v27
	v_mov_b32_e32 v38, 0
	s_mov_b32 s8, exec_lo
	v_lshlrev_b32_e32 v0, 3, v2
	global_load_dwordx2 v[0:1], v0, s[66:67]
	s_waitcnt vmcnt(0)
	v_fmac_f32_e32 v0, v23, v1
	v_cvt_i32_f32_e32 v33, v0
	v_mad_u32_u24 v0, 0xc8, v2, v33
	v_ashrrev_i32_e32 v1, 31, v0
	v_lshlrev_b64 v[0:1], 3, v[0:1]
	v_add_co_u32 v2, vcc_lo, s68, v0
	v_add_co_ci_u32_e64 v3, null, s69, v1, vcc_lo
	global_load_dwordx2 v[2:3], v[2:3], off
	s_waitcnt vmcnt(0)
	v_fmac_f32_e32 v2, v23, v3
	v_div_scale_f32 v3, null, v28, v28, v2
	v_div_scale_f32 v8, vcc_lo, v2, v28, v2
	v_rcp_f32_e32 v4, v3
	v_fma_f32 v7, -v3, v4, 1.0
	v_fmac_f32_e32 v4, v7, v4
	v_mul_f32_e32 v7, v8, v4
	v_fma_f32 v9, -v3, v7, v8
	v_fmac_f32_e32 v7, v9, v4
	v_fma_f32 v3, -v3, v7, v8
	v_and_b32_e32 v8, 1, v61
	v_div_fmas_f32 v3, v3, v4, v7
	v_div_fixup_f32 v7, v3, v28, v2
	v_cmpx_eq_u32_e32 1, v8
	s_cbranch_execz .LBB1_36
; %bb.35:                               ;   in Loop: Header=BB1_19 Depth=1
	v_add_co_u32 v0, vcc_lo, s70, v0
	v_add_co_ci_u32_e64 v1, null, s71, v1, vcc_lo
	global_load_dwordx2 v[38:39], v[0:1], off
	s_waitcnt vmcnt(0)
	v_fmac_f32_e32 v38, v23, v39
	v_mul_f32_e32 v7, v7, v38
.LBB1_36:                               ;   in Loop: Header=BB1_19 Depth=1
	s_or_b32 exec_lo, exec_lo, s8
	v_mul_f32_e64 v8, v7, -v6
.LBB1_37:                               ;   in Loop: Header=BB1_19 Depth=1
	s_or_b32 exec_lo, exec_lo, s6
	s_mov_b32 s6, exec_lo
                                        ; implicit-def: $vgpr0
	v_cmpx_ne_u32_e32 0, v60
	s_xor_b32 s6, exec_lo, s6
	s_cbranch_execz .LBB1_69
; %bb.38:                               ;   in Loop: Header=BB1_19 Depth=1
	buffer_load_dword v0, off, s[0:3], 0 offset:4 ; 4-byte Folded Reload
	v_add_nc_u32_e32 v9, -1, v60
	s_mov_b32 s8, exec_lo
	s_waitcnt vmcnt(0)
	v_mul_hi_u32 v0, v9, v0
	v_mul_lo_u32 v1, v0, s93
	v_add_nc_u32_e32 v2, 1, v0
	v_sub_nc_u32_e32 v1, v9, v1
	v_cmp_le_u32_e32 vcc_lo, s93, v1
	v_cndmask_b32_e32 v0, v0, v2, vcc_lo
	v_subrev_nc_u32_e32 v2, s93, v1
	v_cndmask_b32_e32 v1, v1, v2, vcc_lo
	buffer_load_dword v2, off, s[0:3], 0 offset:8 ; 4-byte Folded Reload
	v_cmp_le_u32_e32 vcc_lo, s93, v1
	v_add_nc_u32_e32 v1, 1, v0
	v_cndmask_b32_e32 v1, v0, v1, vcc_lo
	v_mul_lo_u32 v0, s93, v1
	v_sub_nc_u32_e32 v0, v9, v0
	s_waitcnt vmcnt(0)
	v_mul_hi_u32 v2, v0, v2
	v_mul_lo_u32 v3, v2, s16
	v_add_nc_u32_e32 v4, 1, v2
	v_sub_nc_u32_e32 v3, v0, v3
	v_cmp_le_u32_e32 vcc_lo, s16, v3
	v_cndmask_b32_e32 v2, v2, v4, vcc_lo
	v_subrev_nc_u32_e32 v4, s16, v3
	v_cndmask_b32_e32 v3, v3, v4, vcc_lo
	v_cmp_le_u32_e32 vcc_lo, s16, v3
	v_add_nc_u32_e32 v3, 1, v2
	v_cndmask_b32_e32 v2, v2, v3, vcc_lo
	v_mul_lo_u32 v3, v2, s16
	v_sub_nc_u32_e32 v3, v0, v3
                                        ; implicit-def: $vgpr0
	v_cmpx_nlt_f32_e32 0, v24
	s_xor_b32 s8, exec_lo, s8
	s_cbranch_execz .LBB1_44
; %bb.39:                               ;   in Loop: Header=BB1_19 Depth=1
	v_mov_b32_e32 v0, v60
	s_mov_b32 s9, exec_lo
	v_cmpx_gt_f32_e32 0, v24
	s_cbranch_execz .LBB1_43
; %bb.40:                               ;   in Loop: Header=BB1_19 Depth=1
	v_ashrrev_i32_e32 v4, 31, v3
	s_mov_b32 s14, exec_lo
	v_lshlrev_b64 v[10:11], 2, v[3:4]
	v_add_co_u32 v10, vcc_lo, s20, v10
	v_add_co_ci_u32_e64 v11, null, s21, v11, vcc_lo
	global_load_dword v0, v[10:11], off
	s_waitcnt vmcnt(0)
	v_sub_f32_e32 v0, v0, v20
	v_div_scale_f32 v4, null, v24, v24, v0
	v_div_scale_f32 v12, vcc_lo, v0, v24, v0
	v_rcp_f32_e32 v10, v4
	v_fma_f32 v11, -v4, v10, 1.0
	v_fmac_f32_e32 v10, v11, v10
	v_mul_f32_e32 v11, v12, v10
	v_fma_f32 v13, -v4, v11, v12
	v_fmac_f32_e32 v11, v13, v10
	v_fma_f32 v4, -v4, v11, v12
	v_div_fmas_f32 v4, v4, v10, v11
	v_div_fixup_f32 v4, v4, v24, v0
	v_mov_b32_e32 v0, v60
	v_cmpx_le_f32_e32 v4, v8
; %bb.41:                               ;   in Loop: Header=BB1_19 Depth=1
	v_cmp_lt_i32_e32 vcc_lo, 0, v3
	v_mov_b32_e32 v8, v4
	v_cndmask_b32_e32 v0, 0, v9, vcc_lo
; %bb.42:                               ;   in Loop: Header=BB1_19 Depth=1
	s_or_b32 exec_lo, exec_lo, s14
.LBB1_43:                               ;   in Loop: Header=BB1_19 Depth=1
	s_or_b32 exec_lo, exec_lo, s9
                                        ; implicit-def: $vgpr3
.LBB1_44:                               ;   in Loop: Header=BB1_19 Depth=1
	s_andn2_saveexec_b32 s8, s8
	s_cbranch_execz .LBB1_48
; %bb.45:                               ;   in Loop: Header=BB1_19 Depth=1
	v_ashrrev_i32_e32 v4, 31, v3
	s_mov_b32 s9, exec_lo
	v_lshlrev_b64 v[9:10], 2, v[3:4]
	v_add_co_u32 v9, vcc_lo, s20, v9
	v_add_co_ci_u32_e64 v10, null, s21, v10, vcc_lo
	global_load_dword v0, v[9:10], off offset:4
	s_waitcnt vmcnt(0)
	v_sub_f32_e32 v0, v0, v20
	v_div_scale_f32 v4, null, v24, v24, v0
	v_div_scale_f32 v11, vcc_lo, v0, v24, v0
	v_rcp_f32_e32 v9, v4
	v_fma_f32 v10, -v4, v9, 1.0
	v_fmac_f32_e32 v9, v10, v9
	v_mul_f32_e32 v10, v11, v9
	v_fma_f32 v12, -v4, v10, v11
	v_fmac_f32_e32 v10, v12, v9
	v_fma_f32 v4, -v4, v10, v11
	v_div_fmas_f32 v4, v4, v9, v10
	v_div_fixup_f32 v4, v4, v24, v0
	v_mov_b32_e32 v0, v60
	v_cmpx_le_f32_e32 v4, v8
; %bb.46:                               ;   in Loop: Header=BB1_19 Depth=1
	v_add_nc_u32_e32 v0, 1, v3
	v_add_nc_u32_e32 v3, 1, v60
	v_mov_b32_e32 v8, v4
	v_cmp_gt_u32_e32 vcc_lo, s16, v0
	v_cndmask_b32_e32 v0, 0, v3, vcc_lo
; %bb.47:                               ;   in Loop: Header=BB1_19 Depth=1
	s_or_b32 exec_lo, exec_lo, s9
.LBB1_48:                               ;   in Loop: Header=BB1_19 Depth=1
	s_or_b32 exec_lo, exec_lo, s8
	s_mov_b32 s8, exec_lo
	v_cmpx_nlt_f32_e32 0, v25
	s_xor_b32 s8, exec_lo, s8
	s_cbranch_execz .LBB1_54
; %bb.49:                               ;   in Loop: Header=BB1_19 Depth=1
	s_mov_b32 s9, exec_lo
	v_cmpx_gt_f32_e32 0, v25
	s_cbranch_execz .LBB1_53
; %bb.50:                               ;   in Loop: Header=BB1_19 Depth=1
	v_ashrrev_i32_e32 v3, 31, v2
	s_mov_b32 s14, exec_lo
	v_lshlrev_b64 v[3:4], 2, v[2:3]
	v_add_co_u32 v3, vcc_lo, s22, v3
	v_add_co_ci_u32_e64 v4, null, s23, v4, vcc_lo
	global_load_dword v3, v[3:4], off
	s_waitcnt vmcnt(0)
	v_sub_f32_e32 v3, v3, v34
	v_div_scale_f32 v4, null, v25, v25, v3
	v_rcp_f32_e32 v9, v4
	v_fma_f32 v10, -v4, v9, 1.0
	v_fmac_f32_e32 v9, v10, v9
	v_div_scale_f32 v10, vcc_lo, v3, v25, v3
	v_mul_f32_e32 v11, v10, v9
	v_fma_f32 v12, -v4, v11, v10
	v_fmac_f32_e32 v11, v12, v9
	v_fma_f32 v4, -v4, v11, v10
	v_div_fmas_f32 v4, v4, v9, v11
	v_div_fixup_f32 v3, v4, v25, v3
	v_cmpx_le_f32_e32 v3, v8
; %bb.51:                               ;   in Loop: Header=BB1_19 Depth=1
	v_subrev_nc_u32_e32 v0, s16, v60
	v_cmp_lt_i32_e32 vcc_lo, 0, v2
	v_mov_b32_e32 v8, v3
	v_cndmask_b32_e32 v0, 0, v0, vcc_lo
; %bb.52:                               ;   in Loop: Header=BB1_19 Depth=1
	s_or_b32 exec_lo, exec_lo, s14
.LBB1_53:                               ;   in Loop: Header=BB1_19 Depth=1
	s_or_b32 exec_lo, exec_lo, s9
                                        ; implicit-def: $vgpr2
.LBB1_54:                               ;   in Loop: Header=BB1_19 Depth=1
	s_andn2_saveexec_b32 s8, s8
	s_cbranch_execz .LBB1_58
; %bb.55:                               ;   in Loop: Header=BB1_19 Depth=1
	v_ashrrev_i32_e32 v3, 31, v2
	s_mov_b32 s9, exec_lo
	v_lshlrev_b64 v[3:4], 2, v[2:3]
	v_add_co_u32 v3, vcc_lo, s22, v3
	v_add_co_ci_u32_e64 v4, null, s23, v4, vcc_lo
	global_load_dword v3, v[3:4], off offset:4
	s_waitcnt vmcnt(0)
	v_sub_f32_e32 v3, v3, v34
	v_div_scale_f32 v4, null, v25, v25, v3
	v_rcp_f32_e32 v9, v4
	v_fma_f32 v10, -v4, v9, 1.0
	v_fmac_f32_e32 v9, v10, v9
	v_div_scale_f32 v10, vcc_lo, v3, v25, v3
	v_mul_f32_e32 v11, v10, v9
	v_fma_f32 v12, -v4, v11, v10
	v_fmac_f32_e32 v11, v12, v9
	v_fma_f32 v4, -v4, v11, v10
	v_div_fmas_f32 v4, v4, v9, v11
	v_div_fixup_f32 v3, v4, v25, v3
	v_cmpx_le_f32_e32 v3, v8
; %bb.56:                               ;   in Loop: Header=BB1_19 Depth=1
	v_add_nc_u32_e32 v0, 1, v2
	v_add_nc_u32_e32 v2, s16, v60
	v_mov_b32_e32 v8, v3
	v_cmp_gt_u32_e32 vcc_lo, s17, v0
	v_cndmask_b32_e32 v0, 0, v2, vcc_lo
; %bb.57:                               ;   in Loop: Header=BB1_19 Depth=1
	s_or_b32 exec_lo, exec_lo, s9
.LBB1_58:                               ;   in Loop: Header=BB1_19 Depth=1
	s_or_b32 exec_lo, exec_lo, s8
	s_mov_b32 s8, exec_lo
	v_cmpx_nlt_f32_e32 0, v26
	s_xor_b32 s8, exec_lo, s8
	s_cbranch_execz .LBB1_64
; %bb.59:                               ;   in Loop: Header=BB1_19 Depth=1
	s_mov_b32 s9, exec_lo
	v_cmpx_gt_f32_e32 0, v26
	s_cbranch_execz .LBB1_63
; %bb.60:                               ;   in Loop: Header=BB1_19 Depth=1
	v_ashrrev_i32_e32 v2, 31, v1
	s_mov_b32 s14, exec_lo
	v_lshlrev_b64 v[2:3], 2, v[1:2]
	v_add_co_u32 v2, vcc_lo, s56, v2
	v_add_co_ci_u32_e64 v3, null, s57, v3, vcc_lo
	global_load_dword v2, v[2:3], off
	s_waitcnt vmcnt(0)
	v_sub_f32_e32 v2, v2, v35
	v_div_scale_f32 v3, null, v26, v26, v2
	v_rcp_f32_e32 v4, v3
	v_fma_f32 v9, -v3, v4, 1.0
	v_fmac_f32_e32 v4, v9, v4
	v_div_scale_f32 v9, vcc_lo, v2, v26, v2
	v_mul_f32_e32 v10, v9, v4
	v_fma_f32 v11, -v3, v10, v9
	v_fmac_f32_e32 v10, v11, v4
	v_fma_f32 v3, -v3, v10, v9
	v_div_fmas_f32 v3, v3, v4, v10
	v_div_fixup_f32 v2, v3, v26, v2
	v_cmpx_le_f32_e32 v2, v8
; %bb.61:                               ;   in Loop: Header=BB1_19 Depth=1
	v_subrev_nc_u32_e32 v0, s93, v60
	v_cmp_lt_i32_e32 vcc_lo, 0, v1
	v_mov_b32_e32 v8, v2
	v_cndmask_b32_e32 v0, 0, v0, vcc_lo
; %bb.62:                               ;   in Loop: Header=BB1_19 Depth=1
	s_or_b32 exec_lo, exec_lo, s14
.LBB1_63:                               ;   in Loop: Header=BB1_19 Depth=1
	s_or_b32 exec_lo, exec_lo, s9
                                        ; implicit-def: $vgpr1
.LBB1_64:                               ;   in Loop: Header=BB1_19 Depth=1
	s_andn2_saveexec_b32 s8, s8
	s_cbranch_execz .LBB1_68
; %bb.65:                               ;   in Loop: Header=BB1_19 Depth=1
	v_ashrrev_i32_e32 v2, 31, v1
	s_mov_b32 s9, exec_lo
	v_lshlrev_b64 v[2:3], 2, v[1:2]
	v_add_co_u32 v2, vcc_lo, s56, v2
	v_add_co_ci_u32_e64 v3, null, s57, v3, vcc_lo
	global_load_dword v2, v[2:3], off offset:4
	s_waitcnt vmcnt(0)
	v_sub_f32_e32 v2, v2, v35
	v_div_scale_f32 v3, null, v26, v26, v2
	v_rcp_f32_e32 v4, v3
	v_fma_f32 v9, -v3, v4, 1.0
	v_fmac_f32_e32 v4, v9, v4
	v_div_scale_f32 v9, vcc_lo, v2, v26, v2
	v_mul_f32_e32 v10, v9, v4
	v_fma_f32 v11, -v3, v10, v9
	v_fmac_f32_e32 v10, v11, v4
	v_fma_f32 v3, -v3, v10, v9
	v_div_fmas_f32 v3, v3, v4, v10
	v_div_fixup_f32 v2, v3, v26, v2
	v_cmpx_le_f32_e32 v2, v8
; %bb.66:                               ;   in Loop: Header=BB1_19 Depth=1
	v_add_nc_u32_e32 v0, 1, v1
	v_add_nc_u32_e32 v1, s93, v60
	v_mov_b32_e32 v8, v2
	v_cmp_gt_u32_e32 vcc_lo, s18, v0
	v_cndmask_b32_e32 v0, 0, v1, vcc_lo
; %bb.67:                               ;   in Loop: Header=BB1_19 Depth=1
	s_or_b32 exec_lo, exec_lo, s9
.LBB1_68:                               ;   in Loop: Header=BB1_19 Depth=1
	s_or_b32 exec_lo, exec_lo, s8
.LBB1_69:                               ;   in Loop: Header=BB1_19 Depth=1
	s_andn2_saveexec_b32 s8, s6
	s_cbranch_execz .LBB1_147
; %bb.70:                               ;   in Loop: Header=BB1_19 Depth=1
	global_load_dword v4, v47, s[20:21]
	v_cmp_nlt_f32_e64 s6, 0, v24
                                        ; implicit-def: $vgpr9
                                        ; implicit-def: $vgpr2
	s_waitcnt vmcnt(0)
	v_cmp_nle_f32_e32 vcc_lo, v20, v4
	s_or_b32 s6, vcc_lo, s6
	s_and_saveexec_b32 s9, s6
	s_xor_b32 s9, exec_lo, s9
	s_cbranch_execz .LBB1_74
; %bb.71:                               ;   in Loop: Header=BB1_19 Depth=1
	global_load_dword v0, v47, s[58:59]
	v_cmp_gt_f32_e64 s6, 0, v24
	v_mov_b32_e32 v9, -1
                                        ; implicit-def: $vgpr2
	s_waitcnt vmcnt(0)
	v_cmp_ge_f32_e32 vcc_lo, v20, v0
	s_and_b32 s14, vcc_lo, s6
	s_and_saveexec_b32 s6, s14
	s_cbranch_execz .LBB1_73
; %bb.72:                               ;   in Loop: Header=BB1_19 Depth=1
	v_sub_f32_e32 v0, v0, v20
	v_div_scale_f32 v1, null, v24, v24, v0
	v_div_scale_f32 v9, vcc_lo, v0, v24, v0
	v_rcp_f32_e32 v2, v1
	v_fma_f32 v3, -v1, v2, 1.0
	v_fmac_f32_e32 v2, v3, v2
	v_mul_f32_e32 v3, v9, v2
	v_fma_f32 v10, -v1, v3, v9
	v_fmac_f32_e32 v3, v10, v2
	v_fma_f32 v1, -v1, v3, v9
	v_mov_b32_e32 v9, s86
	v_div_fmas_f32 v1, v1, v2, v3
	v_div_fixup_f32 v2, v1, v24, v0
.LBB1_73:                               ;   in Loop: Header=BB1_19 Depth=1
	s_or_b32 exec_lo, exec_lo, s6
.LBB1_74:                               ;   in Loop: Header=BB1_19 Depth=1
	s_andn2_saveexec_b32 s6, s9
	s_cbranch_execz .LBB1_76
; %bb.75:                               ;   in Loop: Header=BB1_19 Depth=1
	v_sub_f32_e32 v0, v4, v20
	v_div_scale_f32 v1, null, v24, v24, v0
	v_div_scale_f32 v9, vcc_lo, v0, v24, v0
	v_rcp_f32_e32 v2, v1
	v_fma_f32 v3, -v1, v2, 1.0
	v_fmac_f32_e32 v2, v3, v2
	v_mul_f32_e32 v3, v9, v2
	v_fma_f32 v10, -v1, v3, v9
	v_fmac_f32_e32 v3, v10, v2
	v_fma_f32 v1, -v1, v3, v9
	v_mov_b32_e32 v9, 0
	v_div_fmas_f32 v1, v1, v2, v3
	v_div_fixup_f32 v2, v1, v24, v0
.LBB1_76:                               ;   in Loop: Header=BB1_19 Depth=1
	s_or_b32 exec_lo, exec_lo, s6
	global_load_dword v3, v47, s[22:23]
	v_cmp_lt_i32_e32 vcc_lo, -1, v9
	v_cmp_le_f32_e64 s6, v2, v8
                                        ; implicit-def: $vgpr0
	s_and_b32 s14, vcc_lo, s6
	s_mov_b32 s6, -1
	s_and_saveexec_b32 s9, s14
	s_cbranch_execz .LBB1_94
; %bb.77:                               ;   in Loop: Header=BB1_19 Depth=1
	v_fma_f32 v0, v25, v2, v34
	v_mov_b32_e32 v1, -1
	s_mov_b32 s14, exec_lo
	s_waitcnt vmcnt(0)
	v_cmpx_nlt_f32_e32 v0, v3
	s_cbranch_execz .LBB1_83
; %bb.78:                               ;   in Loop: Header=BB1_19 Depth=1
	global_load_dword v1, v47, s[60:61]
	s_waitcnt vmcnt(0)
	v_cmp_gt_f32_e32 vcc_lo, v0, v1
	v_cndmask_b32_e64 v1, 0, -1, vcc_lo
	s_or_b32 s6, vcc_lo, s87
	s_nor_b32 s30, vcc_lo, s88
	v_cndmask_b32_e64 v1, s90, v1, s6
	s_and_saveexec_b32 s6, s30
	s_cbranch_execz .LBB1_82
; %bb.79:                               ;   in Loop: Header=BB1_19 Depth=1
	v_mov_b32_e32 v1, s17
	v_mov_b32_e32 v10, 0
	s_mov_b32 s30, 0
	.p2align	6
.LBB1_80:                               ;   Parent Loop BB1_19 Depth=1
                                        ; =>  This Inner Loop Header: Depth=2
	v_add_nc_u32_e32 v11, v10, v1
	v_lshrrev_b32_e32 v46, 1, v11
	v_lshlrev_b64 v[11:12], 2, v[46:47]
	v_add_co_u32 v11, vcc_lo, s22, v11
	v_add_co_ci_u32_e64 v12, null, s23, v12, vcc_lo
	global_load_dword v11, v[11:12], off
	s_waitcnt vmcnt(0)
	v_cmp_nle_f32_e32 vcc_lo, v0, v11
	v_cndmask_b32_e32 v10, v10, v46, vcc_lo
	v_cndmask_b32_e32 v1, v46, v1, vcc_lo
	v_sub_nc_u32_e32 v11, v1, v10
	v_cmp_gt_i32_e32 vcc_lo, 2, v11
	s_or_b32 s30, vcc_lo, s30
	s_andn2_b32 exec_lo, exec_lo, s30
	s_cbranch_execnz .LBB1_80
; %bb.81:                               ;   in Loop: Header=BB1_19 Depth=1
	s_or_b32 exec_lo, exec_lo, s30
	v_add_nc_u32_e32 v1, -1, v1
.LBB1_82:                               ;   in Loop: Header=BB1_19 Depth=1
	s_or_b32 exec_lo, exec_lo, s6
.LBB1_83:                               ;   in Loop: Header=BB1_19 Depth=1
	s_or_b32 exec_lo, exec_lo, s14
	s_mov_b32 s6, -1
	s_mov_b32 s14, exec_lo
                                        ; implicit-def: $vgpr0
	v_cmpx_lt_i32_e32 -1, v1
	s_cbranch_execz .LBB1_93
; %bb.84:                               ;   in Loop: Header=BB1_19 Depth=1
	global_load_dword v10, v47, s[56:57]
	v_fma_f32 v0, v26, v2, v35
	s_waitcnt vmcnt(0)
	v_cmp_nlt_f32_e32 vcc_lo, v0, v10
	v_mov_b32_e32 v10, -1
	s_and_saveexec_b32 s30, vcc_lo
	s_cbranch_execz .LBB1_90
; %bb.85:                               ;   in Loop: Header=BB1_19 Depth=1
	global_load_dword v10, v47, s[62:63]
	s_waitcnt vmcnt(0)
	v_cmp_gt_f32_e32 vcc_lo, v0, v10
	v_cndmask_b32_e64 v10, 0, -1, vcc_lo
	s_or_b32 s6, vcc_lo, s19
	s_nor_b32 s31, vcc_lo, s89
	v_cndmask_b32_e64 v10, s27, v10, s6
	s_and_saveexec_b32 s6, s31
	s_cbranch_execz .LBB1_89
; %bb.86:                               ;   in Loop: Header=BB1_19 Depth=1
	v_mov_b32_e32 v10, s18
	v_mov_b32_e32 v11, 0
	s_mov_b32 s31, 0
	.p2align	6
.LBB1_87:                               ;   Parent Loop BB1_19 Depth=1
                                        ; =>  This Inner Loop Header: Depth=2
	v_add_nc_u32_e32 v12, v11, v10
	v_lshrrev_b32_e32 v46, 1, v12
	v_lshlrev_b64 v[12:13], 2, v[46:47]
	v_add_co_u32 v12, vcc_lo, s56, v12
	v_add_co_ci_u32_e64 v13, null, s57, v13, vcc_lo
	global_load_dword v12, v[12:13], off
	s_waitcnt vmcnt(0)
	v_cmp_nle_f32_e32 vcc_lo, v0, v12
	v_cndmask_b32_e32 v11, v11, v46, vcc_lo
	v_cndmask_b32_e32 v10, v46, v10, vcc_lo
	v_sub_nc_u32_e32 v12, v10, v11
	v_cmp_gt_i32_e32 vcc_lo, 2, v12
	s_or_b32 s31, vcc_lo, s31
	s_andn2_b32 exec_lo, exec_lo, s31
	s_cbranch_execnz .LBB1_87
; %bb.88:                               ;   in Loop: Header=BB1_19 Depth=1
	s_or_b32 exec_lo, exec_lo, s31
	v_add_nc_u32_e32 v10, -1, v10
.LBB1_89:                               ;   in Loop: Header=BB1_19 Depth=1
	s_or_b32 exec_lo, exec_lo, s6
.LBB1_90:                               ;   in Loop: Header=BB1_19 Depth=1
	s_or_b32 exec_lo, exec_lo, s30
	s_mov_b32 s30, -1
	s_mov_b32 s6, exec_lo
                                        ; implicit-def: $vgpr0
	v_cmpx_lt_i32_e32 -1, v10
; %bb.91:                               ;   in Loop: Header=BB1_19 Depth=1
	v_mad_u64_u32 v[0:1], null, v10, s17, v[1:2]
	v_mov_b32_e32 v8, v2
	s_xor_b32 s30, exec_lo, -1
	v_mul_lo_u32 v0, s16, v0
	v_add3_u32 v0, v9, v0, 1
; %bb.92:                               ;   in Loop: Header=BB1_19 Depth=1
	s_or_b32 exec_lo, exec_lo, s6
	s_orn2_b32 s6, s30, exec_lo
.LBB1_93:                               ;   in Loop: Header=BB1_19 Depth=1
	s_or_b32 exec_lo, exec_lo, s14
	s_orn2_b32 s6, s6, exec_lo
.LBB1_94:                               ;   in Loop: Header=BB1_19 Depth=1
	s_or_b32 exec_lo, exec_lo, s9
	s_and_saveexec_b32 s9, s6
	s_cbranch_execz .LBB1_146
; %bb.95:                               ;   in Loop: Header=BB1_19 Depth=1
	s_waitcnt vmcnt(0)
	v_cmp_nle_f32_e32 vcc_lo, v34, v3
	v_cmp_nlt_f32_e64 s6, 0, v25
                                        ; implicit-def: $vgpr1
	s_or_b32 s6, vcc_lo, s6
	s_and_saveexec_b32 s14, s6
	s_xor_b32 s14, exec_lo, s14
	s_cbranch_execz .LBB1_99
; %bb.96:                               ;   in Loop: Header=BB1_19 Depth=1
	global_load_dword v9, v47, s[60:61]
	v_cmp_gt_f32_e64 s6, 0, v25
	v_mov_b32_e32 v1, -1
	s_waitcnt vmcnt(0)
	v_cmp_ge_f32_e32 vcc_lo, v34, v9
	s_and_b32 s30, vcc_lo, s6
	s_and_saveexec_b32 s6, s30
	s_cbranch_execz .LBB1_98
; %bb.97:                               ;   in Loop: Header=BB1_19 Depth=1
	v_sub_f32_e32 v1, v9, v34
	v_div_scale_f32 v2, null, v25, v25, v1
	v_div_scale_f32 v11, vcc_lo, v1, v25, v1
	v_rcp_f32_e32 v9, v2
	v_fma_f32 v10, -v2, v9, 1.0
	v_fmac_f32_e32 v9, v10, v9
	v_mul_f32_e32 v10, v11, v9
	v_fma_f32 v12, -v2, v10, v11
	v_fmac_f32_e32 v10, v12, v9
	v_fma_f32 v2, -v2, v10, v11
	v_div_fmas_f32 v2, v2, v9, v10
	v_div_fixup_f32 v2, v2, v25, v1
	v_mov_b32_e32 v1, s90
.LBB1_98:                               ;   in Loop: Header=BB1_19 Depth=1
	s_or_b32 exec_lo, exec_lo, s6
.LBB1_99:                               ;   in Loop: Header=BB1_19 Depth=1
	s_andn2_saveexec_b32 s6, s14
	s_cbranch_execz .LBB1_101
; %bb.100:                              ;   in Loop: Header=BB1_19 Depth=1
	v_sub_f32_e32 v1, v3, v34
	v_div_scale_f32 v2, null, v25, v25, v1
	v_div_scale_f32 v11, vcc_lo, v1, v25, v1
	v_rcp_f32_e32 v9, v2
	v_fma_f32 v10, -v2, v9, 1.0
	v_fmac_f32_e32 v9, v10, v9
	v_mul_f32_e32 v10, v11, v9
	v_fma_f32 v12, -v2, v10, v11
	v_fmac_f32_e32 v10, v12, v9
	v_fma_f32 v2, -v2, v10, v11
	v_div_fmas_f32 v2, v2, v9, v10
	v_div_fixup_f32 v2, v2, v25, v1
	v_mov_b32_e32 v1, 0
.LBB1_101:                              ;   in Loop: Header=BB1_19 Depth=1
	s_or_b32 exec_lo, exec_lo, s6
	v_cmp_lt_i32_e32 vcc_lo, -1, v1
	v_cmp_le_f32_e64 s6, v2, v8
	s_and_b32 s30, vcc_lo, s6
	s_mov_b32 s6, -1
	s_and_saveexec_b32 s14, s30
	s_cbranch_execz .LBB1_119
; %bb.102:                              ;   in Loop: Header=BB1_19 Depth=1
	v_fma_f32 v10, v24, v2, v20
	v_mov_b32_e32 v9, -1
	s_mov_b32 s30, exec_lo
	v_cmpx_nlt_f32_e32 v10, v4
	s_cbranch_execz .LBB1_108
; %bb.103:                              ;   in Loop: Header=BB1_19 Depth=1
	global_load_dword v9, v47, s[58:59]
	s_waitcnt vmcnt(0)
	v_cmp_gt_f32_e32 vcc_lo, v10, v9
	v_cndmask_b32_e64 v9, 0, -1, vcc_lo
	s_or_b32 s6, vcc_lo, s91
	s_nor_b32 s31, vcc_lo, s92
	v_cndmask_b32_e64 v9, s86, v9, s6
	s_and_saveexec_b32 s6, s31
	s_cbranch_execz .LBB1_107
; %bb.104:                              ;   in Loop: Header=BB1_19 Depth=1
	v_mov_b32_e32 v9, s16
	v_mov_b32_e32 v11, 0
	s_mov_b32 s31, 0
	.p2align	6
.LBB1_105:                              ;   Parent Loop BB1_19 Depth=1
                                        ; =>  This Inner Loop Header: Depth=2
	v_add_nc_u32_e32 v12, v11, v9
	v_lshrrev_b32_e32 v46, 1, v12
	v_lshlrev_b64 v[12:13], 2, v[46:47]
	v_add_co_u32 v12, vcc_lo, s20, v12
	v_add_co_ci_u32_e64 v13, null, s21, v13, vcc_lo
	global_load_dword v12, v[12:13], off
	s_waitcnt vmcnt(0)
	v_cmp_nle_f32_e32 vcc_lo, v10, v12
	v_cndmask_b32_e32 v11, v11, v46, vcc_lo
	v_cndmask_b32_e32 v9, v46, v9, vcc_lo
	v_sub_nc_u32_e32 v12, v9, v11
	v_cmp_gt_i32_e32 vcc_lo, 2, v12
	s_or_b32 s31, vcc_lo, s31
	s_andn2_b32 exec_lo, exec_lo, s31
	s_cbranch_execnz .LBB1_105
; %bb.106:                              ;   in Loop: Header=BB1_19 Depth=1
	s_or_b32 exec_lo, exec_lo, s31
	v_add_nc_u32_e32 v9, -1, v9
.LBB1_107:                              ;   in Loop: Header=BB1_19 Depth=1
	s_or_b32 exec_lo, exec_lo, s6
.LBB1_108:                              ;   in Loop: Header=BB1_19 Depth=1
	s_or_b32 exec_lo, exec_lo, s30
	s_mov_b32 s6, -1
	s_mov_b32 s30, exec_lo
	v_cmpx_lt_i32_e32 -1, v9
	s_cbranch_execz .LBB1_118
; %bb.109:                              ;   in Loop: Header=BB1_19 Depth=1
	global_load_dword v11, v47, s[56:57]
	v_fma_f32 v10, v26, v2, v35
	s_waitcnt vmcnt(0)
	v_cmp_nlt_f32_e32 vcc_lo, v10, v11
	v_mov_b32_e32 v11, -1
	s_and_saveexec_b32 s31, vcc_lo
	s_cbranch_execz .LBB1_115
; %bb.110:                              ;   in Loop: Header=BB1_19 Depth=1
	global_load_dword v11, v47, s[62:63]
	s_waitcnt vmcnt(0)
	v_cmp_gt_f32_e32 vcc_lo, v10, v11
	v_cndmask_b32_e64 v11, 0, -1, vcc_lo
	s_or_b32 s6, vcc_lo, s19
	s_nor_b32 s47, vcc_lo, s89
	v_cndmask_b32_e64 v11, s27, v11, s6
	s_and_saveexec_b32 s6, s47
	s_cbranch_execz .LBB1_114
; %bb.111:                              ;   in Loop: Header=BB1_19 Depth=1
	v_mov_b32_e32 v11, s18
	v_mov_b32_e32 v12, 0
	s_mov_b32 s47, 0
	.p2align	6
.LBB1_112:                              ;   Parent Loop BB1_19 Depth=1
                                        ; =>  This Inner Loop Header: Depth=2
	v_add_nc_u32_e32 v13, v12, v11
	v_lshrrev_b32_e32 v46, 1, v13
	v_lshlrev_b64 v[13:14], 2, v[46:47]
	v_add_co_u32 v13, vcc_lo, s56, v13
	v_add_co_ci_u32_e64 v14, null, s57, v14, vcc_lo
	global_load_dword v13, v[13:14], off
	s_waitcnt vmcnt(0)
	v_cmp_nle_f32_e32 vcc_lo, v10, v13
	v_cndmask_b32_e32 v12, v12, v46, vcc_lo
	v_cndmask_b32_e32 v11, v46, v11, vcc_lo
	v_sub_nc_u32_e32 v13, v11, v12
	v_cmp_gt_i32_e32 vcc_lo, 2, v13
	s_or_b32 s47, vcc_lo, s47
	s_andn2_b32 exec_lo, exec_lo, s47
	s_cbranch_execnz .LBB1_112
; %bb.113:                              ;   in Loop: Header=BB1_19 Depth=1
	s_or_b32 exec_lo, exec_lo, s47
	v_add_nc_u32_e32 v11, -1, v11
.LBB1_114:                              ;   in Loop: Header=BB1_19 Depth=1
	s_or_b32 exec_lo, exec_lo, s6
.LBB1_115:                              ;   in Loop: Header=BB1_19 Depth=1
	s_or_b32 exec_lo, exec_lo, s31
	s_mov_b32 s31, -1
	s_mov_b32 s6, exec_lo
	v_cmpx_lt_i32_e32 -1, v11
; %bb.116:                              ;   in Loop: Header=BB1_19 Depth=1
	v_mad_u64_u32 v[0:1], null, s17, v11, v[1:2]
	v_mov_b32_e32 v8, v2
	s_xor_b32 s31, exec_lo, -1
	v_mul_lo_u32 v0, v0, s16
	v_add3_u32 v0, v9, v0, 1
; %bb.117:                              ;   in Loop: Header=BB1_19 Depth=1
	s_or_b32 exec_lo, exec_lo, s6
	s_orn2_b32 s6, s31, exec_lo
.LBB1_118:                              ;   in Loop: Header=BB1_19 Depth=1
	s_or_b32 exec_lo, exec_lo, s30
	s_orn2_b32 s6, s6, exec_lo
.LBB1_119:                              ;   in Loop: Header=BB1_19 Depth=1
	s_or_b32 exec_lo, exec_lo, s14
	s_and_saveexec_b32 s14, s6
	s_cbranch_execz .LBB1_145
; %bb.120:                              ;   in Loop: Header=BB1_19 Depth=1
	global_load_dword v0, v47, s[56:57]
	v_cmp_nlt_f32_e64 s6, 0, v26
                                        ; implicit-def: $vgpr9
	s_waitcnt vmcnt(0)
	v_cmp_nle_f32_e32 vcc_lo, v35, v0
	s_or_b32 s6, vcc_lo, s6
	s_and_saveexec_b32 s30, s6
	s_xor_b32 s30, exec_lo, s30
	s_cbranch_execz .LBB1_124
; %bb.121:                              ;   in Loop: Header=BB1_19 Depth=1
	global_load_dword v0, v47, s[62:63]
	v_cmp_gt_f32_e64 s6, 0, v26
	v_mov_b32_e32 v9, -1
	s_waitcnt vmcnt(0)
	v_cmp_ge_f32_e32 vcc_lo, v35, v0
	s_and_b32 s31, vcc_lo, s6
	s_and_saveexec_b32 s6, s31
	s_cbranch_execz .LBB1_123
; %bb.122:                              ;   in Loop: Header=BB1_19 Depth=1
	v_sub_f32_e32 v0, v0, v35
	v_div_scale_f32 v1, null, v26, v26, v0
	v_div_scale_f32 v10, vcc_lo, v0, v26, v0
	v_rcp_f32_e32 v2, v1
	v_fma_f32 v9, -v1, v2, 1.0
	v_fmac_f32_e32 v2, v9, v2
	v_mul_f32_e32 v9, v10, v2
	v_fma_f32 v11, -v1, v9, v10
	v_fmac_f32_e32 v9, v11, v2
	v_fma_f32 v1, -v1, v9, v10
	v_div_fmas_f32 v1, v1, v2, v9
	v_mov_b32_e32 v9, s27
	v_div_fixup_f32 v2, v1, v26, v0
.LBB1_123:                              ;   in Loop: Header=BB1_19 Depth=1
	s_or_b32 exec_lo, exec_lo, s6
                                        ; implicit-def: $vgpr0
.LBB1_124:                              ;   in Loop: Header=BB1_19 Depth=1
	s_andn2_saveexec_b32 s6, s30
	s_cbranch_execz .LBB1_126
; %bb.125:                              ;   in Loop: Header=BB1_19 Depth=1
	v_sub_f32_e32 v0, v0, v35
	v_div_scale_f32 v1, null, v26, v26, v0
	v_div_scale_f32 v10, vcc_lo, v0, v26, v0
	v_rcp_f32_e32 v2, v1
	v_fma_f32 v9, -v1, v2, 1.0
	v_fmac_f32_e32 v2, v9, v2
	v_mul_f32_e32 v9, v10, v2
	v_fma_f32 v11, -v1, v9, v10
	v_fmac_f32_e32 v9, v11, v2
	v_fma_f32 v1, -v1, v9, v10
	v_div_fmas_f32 v1, v1, v2, v9
	v_mov_b32_e32 v9, 0
	v_div_fixup_f32 v2, v1, v26, v0
.LBB1_126:                              ;   in Loop: Header=BB1_19 Depth=1
	s_or_b32 exec_lo, exec_lo, s6
	v_cmp_lt_i32_e32 vcc_lo, -1, v9
	v_cmp_le_f32_e64 s6, v2, v8
	v_mov_b32_e32 v0, 0
	s_and_b32 s6, vcc_lo, s6
	s_and_saveexec_b32 s30, s6
	s_cbranch_execz .LBB1_144
; %bb.127:                              ;   in Loop: Header=BB1_19 Depth=1
	v_fma_f32 v0, v24, v2, v20
	v_cmp_nlt_f32_e32 vcc_lo, v0, v4
	v_mov_b32_e32 v4, -1
	s_and_saveexec_b32 s31, vcc_lo
	s_cbranch_execz .LBB1_133
; %bb.128:                              ;   in Loop: Header=BB1_19 Depth=1
	global_load_dword v1, v47, s[58:59]
	s_waitcnt vmcnt(0)
	v_cmp_gt_f32_e32 vcc_lo, v0, v1
	v_cndmask_b32_e64 v1, 0, -1, vcc_lo
	s_or_b32 s6, vcc_lo, s91
	s_nor_b32 s47, vcc_lo, s92
	v_cndmask_b32_e64 v4, s86, v1, s6
	s_and_saveexec_b32 s6, s47
	s_cbranch_execz .LBB1_132
; %bb.129:                              ;   in Loop: Header=BB1_19 Depth=1
	v_mov_b32_e32 v1, s16
	v_mov_b32_e32 v4, 0
	s_mov_b32 s47, 0
	.p2align	6
.LBB1_130:                              ;   Parent Loop BB1_19 Depth=1
                                        ; =>  This Inner Loop Header: Depth=2
	v_add_nc_u32_e32 v10, v4, v1
	v_lshrrev_b32_e32 v46, 1, v10
	v_lshlrev_b64 v[10:11], 2, v[46:47]
	v_add_co_u32 v10, vcc_lo, s20, v10
	v_add_co_ci_u32_e64 v11, null, s21, v11, vcc_lo
	global_load_dword v10, v[10:11], off
	s_waitcnt vmcnt(0)
	v_cmp_nle_f32_e32 vcc_lo, v0, v10
	v_cndmask_b32_e32 v4, v4, v46, vcc_lo
	v_cndmask_b32_e32 v1, v46, v1, vcc_lo
	v_sub_nc_u32_e32 v10, v1, v4
	v_cmp_gt_i32_e32 vcc_lo, 2, v10
	s_or_b32 s47, vcc_lo, s47
	s_andn2_b32 exec_lo, exec_lo, s47
	s_cbranch_execnz .LBB1_130
; %bb.131:                              ;   in Loop: Header=BB1_19 Depth=1
	s_or_b32 exec_lo, exec_lo, s47
	v_add_nc_u32_e32 v4, -1, v1
.LBB1_132:                              ;   in Loop: Header=BB1_19 Depth=1
	s_or_b32 exec_lo, exec_lo, s6
.LBB1_133:                              ;   in Loop: Header=BB1_19 Depth=1
	s_or_b32 exec_lo, exec_lo, s31
	v_mov_b32_e32 v0, 0
	s_mov_b32 s31, exec_lo
	v_cmpx_lt_i32_e32 -1, v4
	s_cbranch_execz .LBB1_143
; %bb.134:                              ;   in Loop: Header=BB1_19 Depth=1
	v_fma_f32 v0, v25, v2, v34
	v_mov_b32_e32 v1, -1
	s_mov_b32 s47, exec_lo
	v_cmpx_nlt_f32_e32 v0, v3
	s_cbranch_execz .LBB1_140
; %bb.135:                              ;   in Loop: Header=BB1_19 Depth=1
	global_load_dword v1, v47, s[60:61]
	s_waitcnt vmcnt(0)
	v_cmp_gt_f32_e32 vcc_lo, v0, v1
	v_cndmask_b32_e64 v1, 0, -1, vcc_lo
	s_or_b32 s6, vcc_lo, s87
	s_nor_b32 s95, vcc_lo, s88
	v_cndmask_b32_e64 v1, s90, v1, s6
	s_and_saveexec_b32 s6, s95
	s_cbranch_execz .LBB1_139
; %bb.136:                              ;   in Loop: Header=BB1_19 Depth=1
	v_mov_b32_e32 v1, s17
	v_mov_b32_e32 v3, 0
	s_mov_b32 s95, 0
	.p2align	6
.LBB1_137:                              ;   Parent Loop BB1_19 Depth=1
                                        ; =>  This Inner Loop Header: Depth=2
	v_add_nc_u32_e32 v10, v3, v1
	v_lshrrev_b32_e32 v46, 1, v10
	v_lshlrev_b64 v[10:11], 2, v[46:47]
	v_add_co_u32 v10, vcc_lo, s22, v10
	v_add_co_ci_u32_e64 v11, null, s23, v11, vcc_lo
	global_load_dword v10, v[10:11], off
	s_waitcnt vmcnt(0)
	v_cmp_nle_f32_e32 vcc_lo, v0, v10
	v_cndmask_b32_e32 v3, v3, v46, vcc_lo
	v_cndmask_b32_e32 v1, v46, v1, vcc_lo
	v_sub_nc_u32_e32 v10, v1, v3
	v_cmp_gt_i32_e32 vcc_lo, 2, v10
	s_or_b32 s95, vcc_lo, s95
	s_andn2_b32 exec_lo, exec_lo, s95
	s_cbranch_execnz .LBB1_137
; %bb.138:                              ;   in Loop: Header=BB1_19 Depth=1
	s_or_b32 exec_lo, exec_lo, s95
	v_add_nc_u32_e32 v1, -1, v1
.LBB1_139:                              ;   in Loop: Header=BB1_19 Depth=1
	s_or_b32 exec_lo, exec_lo, s6
.LBB1_140:                              ;   in Loop: Header=BB1_19 Depth=1
	s_or_b32 exec_lo, exec_lo, s47
	v_mov_b32_e32 v0, 0
	s_mov_b32 s6, exec_lo
	v_cmpx_lt_i32_e32 -1, v1
; %bb.141:                              ;   in Loop: Header=BB1_19 Depth=1
	v_mad_u64_u32 v[0:1], null, s17, v9, v[1:2]
	v_mov_b32_e32 v8, v2
	v_mul_lo_u32 v0, v0, s16
	v_add3_u32 v0, v4, v0, 1
; %bb.142:                              ;   in Loop: Header=BB1_19 Depth=1
	s_or_b32 exec_lo, exec_lo, s6
.LBB1_143:                              ;   in Loop: Header=BB1_19 Depth=1
	s_or_b32 exec_lo, exec_lo, s31
.LBB1_144:                              ;   in Loop: Header=BB1_19 Depth=1
	s_or_b32 exec_lo, exec_lo, s30
.LBB1_145:                              ;   in Loop: Header=BB1_19 Depth=1
	s_or_b32 exec_lo, exec_lo, s14
.LBB1_146:                              ;   in Loop: Header=BB1_19 Depth=1
	s_or_b32 exec_lo, exec_lo, s9
.LBB1_147:                              ;   in Loop: Header=BB1_19 Depth=1
	s_or_b32 exec_lo, exec_lo, s8
	v_cmp_eq_u32_e64 s6, 0, v0
	v_mov_b32_e32 v1, 0
	v_mov_b32_e32 v39, 1
	v_mov_b32_e32 v46, -1
	s_and_b32 s8, s4, s6
	s_xor_b32 s9, s8, -1
	s_and_saveexec_b32 s8, s9
	s_cbranch_execz .LBB1_155
; %bb.148:                              ;   in Loop: Header=BB1_19 Depth=1
	s_and_saveexec_b32 s9, s5
	s_cbranch_execz .LBB1_150
; %bb.149:                              ;   in Loop: Header=BB1_19 Depth=1
	v_div_scale_f32 v1, null, v7, v7, v8
	v_rcp_f32_e32 v2, v1
	s_waitcnt vmcnt(0)
	v_fma_f32 v3, -v1, v2, 1.0
	v_fmac_f32_e32 v2, v3, v2
	v_div_scale_f32 v3, vcc_lo, v8, v7, v8
	v_mul_f32_e32 v4, v3, v2
	v_fma_f32 v5, -v1, v4, v3
	v_fmac_f32_e32 v4, v5, v2
	v_fma_f32 v1, -v1, v4, v3
	v_div_fmas_f32 v1, v1, v2, v4
	v_div_fixup_f32 v1, v1, v7, v8
	v_sub_f32_e64 v1, -v6, v1
	v_max_f32_e32 v5, 0, v1
.LBB1_150:                              ;   in Loop: Header=BB1_19 Depth=1
	s_or_b32 exec_lo, exec_lo, s9
	v_mov_b32_e32 v46, v27
	s_mov_b32 s5, exec_lo
	v_cmpx_ne_u32_e64 v0, v60
	s_cbranch_execz .LBB1_152
; %bb.151:                              ;   in Loop: Header=BB1_19 Depth=1
	v_mov_b32_e32 v1, v47
	v_mov_b32_e32 v60, v0
	v_lshlrev_b64 v[1:2], 4, v[0:1]
	v_add_co_u32 v1, vcc_lo, s64, v1
	v_add_co_ci_u32_e64 v2, null, s65, v2, vcc_lo
	s_clause 0x1
	global_load_dword v46, v[1:2], off
	global_load_dword v29, v[1:2], off offset:8
	s_waitcnt vmcnt(1)
	v_lshrrev_b32_e32 v61, 16, v46
.LBB1_152:                              ;   in Loop: Header=BB1_19 Depth=1
	s_or_b32 exec_lo, exec_lo, s5
	v_mov_b32_e32 v39, 0
	s_mov_b32 s5, exec_lo
	s_waitcnt vmcnt(0)
	v_cmpx_nle_f32_e32 v21, v29
; %bb.153:                              ;   in Loop: Header=BB1_19 Depth=1
	s_xor_b32 s4, s4, -1
	s_and_b32 s4, s6, s4
	v_cndmask_b32_e64 v39, 2, 1, s4
; %bb.154:                              ;   in Loop: Header=BB1_19 Depth=1
	s_or_b32 exec_lo, exec_lo, s5
	v_fmac_f32_e32 v20, v24, v8
	v_fmac_f32_e32 v34, v25, v8
	;; [unrolled: 1-line block ×3, first 2 shown]
	v_mov_b32_e32 v1, v60
.LBB1_155:                              ;   in Loop: Header=BB1_19 Depth=1
	s_or_b32 exec_lo, exec_lo, s8
	v_mov_b32_e32 v60, v1
.LBB1_156:                              ;   in Loop: Header=BB1_19 Depth=1
	s_or_b32 exec_lo, exec_lo, s7
	v_cmp_eq_u16_sdwa s4, v39, v66 src0_sel:BYTE_0 src1_sel:DWORD
	s_mov_b32 s14, 0
	s_and_b32 s4, s13, s4
	s_and_saveexec_b32 s5, s4
; %bb.157:                              ;   in Loop: Header=BB1_19 Depth=1
	v_cmp_eq_u16_e32 vcc_lo, v46, v27
	v_cmp_ne_u16_e64 s4, -1, v46
	v_mov_b32_e32 v39, 2
	s_and_b32 s4, vcc_lo, s4
	v_cmp_nle_f32_e32 vcc_lo, 0x3727c5ac, v5
	s_and_b32 s4, vcc_lo, s4
	s_and_b32 s14, s4, exec_lo
; %bb.158:                              ;   in Loop: Header=BB1_19 Depth=1
	s_or_b32 exec_lo, exec_lo, s5
	flat_load_ubyte v0, v[48:49] glc dlc
	s_waitcnt vmcnt(0) lgkmcnt(0)
	v_cmp_lt_u32_e32 vcc_lo, 1, v0
	v_add_nc_u32_e32 v0, 1, v0
	s_and_saveexec_b32 s47, vcc_lo
	s_cbranch_execz .LBB1_160
; %bb.159:                              ;   in Loop: Header=BB1_19 Depth=1
	s_add_u32 s8, s10, 8
	s_addc_u32 s9, s11, 0
	s_getpc_b64 s[4:5]
	s_add_u32 s4, s4, _Z17MT_generate_arrayv@rel32@lo+4
	s_addc_u32 s5, s5, _Z17MT_generate_arrayv@rel32@hi+12
	s_swappc_b64 s[30:31], s[4:5]
	v_mov_b32_e32 v0, 0
.LBB1_160:                              ;   in Loop: Header=BB1_19 Depth=1
	s_or_b32 exec_lo, exec_lo, s47
	s_and_saveexec_b32 s4, s12
	s_cbranch_execz .LBB1_162
; %bb.161:                              ;   in Loop: Header=BB1_19 Depth=1
	flat_store_byte v[48:49], v0
	s_waitcnt_vscnt null, 0x0
.LBB1_162:                              ;   in Loop: Header=BB1_19 Depth=1
	s_or_b32 exec_lo, exec_lo, s4
	v_lshl_add_u32 v0, v0, 7, v67
	s_mov_b32 s47, exec_lo
	ds_read_b32 v27, v0
	flat_load_ubyte v0, v[48:49] glc dlc
	s_waitcnt vmcnt(0) lgkmcnt(0)
	v_add_nc_u32_e32 v2, 1, v0
	v_cmpx_lt_u32_e32 1, v0
	s_cbranch_execz .LBB1_164
; %bb.163:                              ;   in Loop: Header=BB1_19 Depth=1
	s_add_u32 s8, s10, 8
	s_addc_u32 s9, s11, 0
	s_getpc_b64 s[4:5]
	s_add_u32 s4, s4, _Z17MT_generate_arrayv@rel32@lo+4
	s_addc_u32 s5, s5, _Z17MT_generate_arrayv@rel32@hi+12
	s_swappc_b64 s[30:31], s[4:5]
	v_mov_b32_e32 v2, 0
.LBB1_164:                              ;   in Loop: Header=BB1_19 Depth=1
	s_or_b32 exec_lo, exec_lo, s47
	s_and_saveexec_b32 s4, s12
	s_cbranch_execz .LBB1_166
; %bb.165:                              ;   in Loop: Header=BB1_19 Depth=1
	flat_store_byte v[48:49], v2
	s_waitcnt_vscnt null, 0x0
.LBB1_166:                              ;   in Loop: Header=BB1_19 Depth=1
	s_or_b32 exec_lo, exec_lo, s4
	v_and_b32_e32 v0, 1, v61
	v_sub_f32_e32 v1, 1.0, v38
	v_cmp_eq_u32_e32 vcc_lo, 1, v0
	v_cmp_lt_f32_e64 s4, v27, v1
	s_and_b32 s5, s14, vcc_lo
	s_and_b32 s4, s5, s4
	v_cndmask_b32_e64 v39, v39, 3, s4
	s_xor_b32 s4, s4, -1
	s_and_b32 s4, s4, s14
	s_and_saveexec_b32 s5, s4
	s_cbranch_execz .LBB1_170
; %bb.167:                              ;   in Loop: Header=BB1_19 Depth=1
	v_and_b32_e32 v0, 0xffff, v46
	v_lshl_add_u32 v2, v2, 7, v67
	v_cmp_nlt_f32_e64 s4, 0x3f82d11e, v21
	v_mov_b32_e32 v39, 6
	v_mad_u32_u24 v0, 0xc8, v0, v33
	ds_read_b32 v2, v2
	v_ashrrev_i32_e32 v1, 31, v0
	v_lshlrev_b64 v[0:1], 3, v[0:1]
	v_add_co_u32 v3, vcc_lo, s72, v0
	v_add_co_ci_u32_e64 v4, null, s73, v1, vcc_lo
	global_load_dwordx2 v[3:4], v[3:4], off
	s_waitcnt vmcnt(0)
	v_fmac_f32_e32 v3, v23, v4
	s_waitcnt lgkmcnt(0)
	v_cmp_nle_f32_e32 vcc_lo, v2, v3
	s_or_b32 s6, vcc_lo, s4
	s_and_saveexec_b32 s4, s6
	s_cbranch_execz .LBB1_169
; %bb.168:                              ;   in Loop: Header=BB1_19 Depth=1
	v_add_co_u32 v0, vcc_lo, s74, v0
	v_add_co_ci_u32_e64 v1, null, s75, v1, vcc_lo
	global_load_dwordx2 v[0:1], v[0:1], off
	s_waitcnt vmcnt(0)
	v_fmac_f32_e32 v0, v23, v1
	v_cmp_lt_f32_e32 vcc_lo, v2, v0
	v_cndmask_b32_e64 v39, 5, 4, vcc_lo
.LBB1_169:                              ;   in Loop: Header=BB1_19 Depth=1
	s_or_b32 exec_lo, exec_lo, s4
.LBB1_170:                              ;   in Loop: Header=BB1_19 Depth=1
	s_or_b32 exec_lo, exec_lo, s5
	v_cndmask_b32_e64 v0, 0, 1, s13
	v_cmp_ne_u32_e32 vcc_lo, 0, v0
	s_and_saveexec_b32 s4, s12
	s_cbranch_execz .LBB1_172
; %bb.171:                              ;   in Loop: Header=BB1_19 Depth=1
	flat_load_dword v0, v[54:55] glc dlc
	s_waitcnt vmcnt(0)
	s_bcnt1_i32_b32 s5, vcc_lo
	s_waitcnt lgkmcnt(0)
	v_add_nc_u32_e32 v0, s5, v0
	flat_store_dword v[54:55], v0
	s_waitcnt_vscnt null, 0x0
	flat_load_dword v0, v[56:57] glc dlc
	s_waitcnt vmcnt(0) lgkmcnt(0)
	v_add_nc_u32_e32 v0, 1, v0
	flat_store_dword v[56:57], v0
	s_waitcnt_vscnt null, 0x0
.LBB1_172:                              ;   in Loop: Header=BB1_19 Depth=1
	s_or_b32 exec_lo, exec_lo, s4
.LBB1_173:                              ;   in Loop: Header=BB1_19 Depth=1
	v_cndmask_b32_e64 v2, 0, 1, s13
	s_mov_b32 s47, -1
	v_cmp_ne_u32_e32 vcc_lo, 0, v2
	s_cmp_eq_u32 vcc_lo, exec_lo
	s_cbranch_scc1 .LBB1_393
; %bb.174:                              ;   in Loop: Header=BB1_19 Depth=1
	v_mov_b32_e32 v0, 7
	v_cmp_eq_u16_sdwa s14, v39, v0 src0_sel:BYTE_0 src1_sel:DWORD
	s_mov_b32 vcc_lo, s14
	s_cbranch_vccz .LBB1_195
; %bb.175:                              ;   in Loop: Header=BB1_19 Depth=1
	flat_load_ubyte v0, v[48:49] glc dlc
	s_waitcnt vmcnt(0) lgkmcnt(0)
	v_cmp_lt_u32_e32 vcc_lo, 1, v0
	v_add_nc_u32_e32 v0, 1, v0
	s_and_saveexec_b32 s95, vcc_lo
	s_cbranch_execz .LBB1_177
; %bb.176:                              ;   in Loop: Header=BB1_19 Depth=1
	s_add_u32 s8, s10, 8
	s_addc_u32 s9, s11, 0
	s_getpc_b64 s[4:5]
	s_add_u32 s4, s4, _Z17MT_generate_arrayv@rel32@lo+4
	s_addc_u32 s5, s5, _Z17MT_generate_arrayv@rel32@hi+12
	s_swappc_b64 s[30:31], s[4:5]
	v_mov_b32_e32 v0, 0
.LBB1_177:                              ;   in Loop: Header=BB1_19 Depth=1
	s_or_b32 exec_lo, exec_lo, s95
	s_and_saveexec_b32 s4, s12
	s_cbranch_execz .LBB1_179
; %bb.178:                              ;   in Loop: Header=BB1_19 Depth=1
	flat_store_byte v[48:49], v0
	s_waitcnt_vscnt null, 0x0
.LBB1_179:                              ;   in Loop: Header=BB1_19 Depth=1
	s_or_b32 exec_lo, exec_lo, s4
	v_lshl_add_u32 v0, v0, 7, v67
	ds_read_b32 v23, v0
	flat_load_ubyte v0, v[48:49] glc dlc
	s_waitcnt vmcnt(0) lgkmcnt(0)
	v_cmp_lt_u32_e32 vcc_lo, 1, v0
	v_add_nc_u32_e32 v0, 1, v0
	s_and_saveexec_b32 s95, vcc_lo
	s_cbranch_execz .LBB1_181
; %bb.180:                              ;   in Loop: Header=BB1_19 Depth=1
	s_add_u32 s8, s10, 8
	s_addc_u32 s9, s11, 0
	s_getpc_b64 s[4:5]
	s_add_u32 s4, s4, _Z17MT_generate_arrayv@rel32@lo+4
	s_addc_u32 s5, s5, _Z17MT_generate_arrayv@rel32@hi+12
	s_swappc_b64 s[30:31], s[4:5]
	v_mov_b32_e32 v0, 0
.LBB1_181:                              ;   in Loop: Header=BB1_19 Depth=1
	s_or_b32 exec_lo, exec_lo, s95
	s_and_saveexec_b32 s4, s12
	s_cbranch_execz .LBB1_183
; %bb.182:                              ;   in Loop: Header=BB1_19 Depth=1
	flat_store_byte v[48:49], v0
	s_waitcnt_vscnt null, 0x0
.LBB1_183:                              ;   in Loop: Header=BB1_19 Depth=1
	s_or_b32 exec_lo, exec_lo, s4
	v_lshl_add_u32 v0, v0, 7, v67
	ds_read_b32 v27, v0
	flat_load_ubyte v0, v[48:49] glc dlc
	s_waitcnt vmcnt(0) lgkmcnt(0)
	v_cmp_lt_u32_e32 vcc_lo, 1, v0
	v_add_nc_u32_e32 v0, 1, v0
	s_and_saveexec_b32 s95, vcc_lo
	s_cbranch_execz .LBB1_185
; %bb.184:                              ;   in Loop: Header=BB1_19 Depth=1
	s_add_u32 s8, s10, 8
	s_addc_u32 s9, s11, 0
	s_getpc_b64 s[4:5]
	s_add_u32 s4, s4, _Z17MT_generate_arrayv@rel32@lo+4
	s_addc_u32 s5, s5, _Z17MT_generate_arrayv@rel32@hi+12
	s_swappc_b64 s[30:31], s[4:5]
	v_mov_b32_e32 v0, 0
.LBB1_185:                              ;   in Loop: Header=BB1_19 Depth=1
	s_or_b32 exec_lo, exec_lo, s95
	s_and_saveexec_b32 s4, s12
	s_cbranch_execz .LBB1_187
; %bb.186:                              ;   in Loop: Header=BB1_19 Depth=1
	flat_store_byte v[48:49], v0
	s_waitcnt_vscnt null, 0x0
.LBB1_187:                              ;   in Loop: Header=BB1_19 Depth=1
	s_or_b32 exec_lo, exec_lo, s4
	v_lshl_add_u32 v0, v0, 7, v67
	s_mov_b32 s95, exec_lo
	ds_read_b32 v28, v0
	flat_load_ubyte v0, v[48:49] glc dlc
	s_waitcnt vmcnt(0) lgkmcnt(0)
	v_add_nc_u32_e32 v4, 1, v0
	v_cmpx_lt_u32_e32 1, v0
	s_cbranch_execnz .LBB1_212
; %bb.188:                              ;   in Loop: Header=BB1_19 Depth=1
	s_or_b32 exec_lo, exec_lo, s95
	s_and_saveexec_b32 s4, s12
	s_cbranch_execnz .LBB1_213
.LBB1_189:                              ;   in Loop: Header=BB1_19 Depth=1
	s_or_b32 exec_lo, exec_lo, s4
	v_mov_b32_e32 v0, 0
	s_and_saveexec_b32 s5, s14
	s_cbranch_execnz .LBB1_214
.LBB1_190:                              ;   in Loop: Header=BB1_19 Depth=1
	s_or_b32 exec_lo, exec_lo, s5
	flat_store_dword v[58:59], v0
	s_waitcnt_vscnt null, 0x0
	s_and_saveexec_b32 s4, s12
	s_cbranch_execz .LBB1_192
.LBB1_191:                              ;   in Loop: Header=BB1_19 Depth=1
	flat_load_dword v0, v[50:51] glc dlc
	s_waitcnt vmcnt(0)
	s_clause 0x1
	buffer_load_dword v2, off, s[0:3], 0 offset:12
	buffer_load_dword v3, off, s[0:3], 0 offset:16
	s_waitcnt lgkmcnt(0)
	v_cvt_f64_f32_e32 v[0:1], v0
	s_waitcnt vmcnt(0)
	flat_load_dword v2, v[2:3] glc dlc
	s_waitcnt vmcnt(0)
	v_add_f64 v[0:1], v[0:1], 0
	s_waitcnt lgkmcnt(0)
	v_cvt_f64_f32_e32 v[2:3], v2
	v_add_f64 v[0:1], v[0:1], v[2:3]
	s_clause 0x1
	buffer_load_dword v2, off, s[0:3], 0 offset:20
	buffer_load_dword v3, off, s[0:3], 0 offset:24
	s_waitcnt vmcnt(0)
	flat_load_dword v2, v[2:3] glc dlc
	s_waitcnt vmcnt(0) lgkmcnt(0)
	v_cvt_f64_f32_e32 v[2:3], v2
	v_add_f64 v[0:1], v[0:1], v[2:3]
	flat_load_dword v2, v[78:79] glc dlc
	s_waitcnt vmcnt(0) lgkmcnt(0)
	v_cvt_f64_f32_e32 v[2:3], v2
	v_add_f64 v[0:1], v[0:1], v[2:3]
	flat_load_dword v2, v[80:81] glc dlc
	s_waitcnt vmcnt(0) lgkmcnt(0)
	v_cvt_f64_f32_e32 v[2:3], v2
	v_add_f64 v[0:1], v[0:1], v[2:3]
	flat_load_dword v2, v[82:83] glc dlc
	s_waitcnt vmcnt(0) lgkmcnt(0)
	v_cvt_f64_f32_e32 v[2:3], v2
	v_add_f64 v[0:1], v[0:1], v[2:3]
	flat_load_dword v2, v[84:85] glc dlc
	s_waitcnt vmcnt(0) lgkmcnt(0)
	v_cvt_f64_f32_e32 v[2:3], v2
	v_add_f64 v[0:1], v[0:1], v[2:3]
	flat_load_dword v2, v[86:87] glc dlc
	s_waitcnt vmcnt(0) lgkmcnt(0)
	v_cvt_f64_f32_e32 v[2:3], v2
	v_add_f64 v[0:1], v[0:1], v[2:3]
	flat_load_dword v2, v[88:89] glc dlc
	s_waitcnt vmcnt(0) lgkmcnt(0)
	v_cvt_f64_f32_e32 v[2:3], v2
	v_add_f64 v[0:1], v[0:1], v[2:3]
	flat_load_dword v2, v[90:91] glc dlc
	s_waitcnt vmcnt(0) lgkmcnt(0)
	v_cvt_f64_f32_e32 v[2:3], v2
	v_add_f64 v[0:1], v[0:1], v[2:3]
	flat_load_dword v2, v[92:93] glc dlc
	s_waitcnt vmcnt(0) lgkmcnt(0)
	v_cvt_f64_f32_e32 v[2:3], v2
	v_add_f64 v[0:1], v[0:1], v[2:3]
	flat_load_dword v2, v[94:95] glc dlc
	s_waitcnt vmcnt(0) lgkmcnt(0)
	v_cvt_f64_f32_e32 v[2:3], v2
	v_add_f64 v[0:1], v[0:1], v[2:3]
	flat_load_dword v2, v[96:97] glc dlc
	s_waitcnt vmcnt(0) lgkmcnt(0)
	v_cvt_f64_f32_e32 v[2:3], v2
	v_add_f64 v[0:1], v[0:1], v[2:3]
	flat_load_dword v2, v[98:99] glc dlc
	s_waitcnt vmcnt(0) lgkmcnt(0)
	v_cvt_f64_f32_e32 v[2:3], v2
	v_add_f64 v[0:1], v[0:1], v[2:3]
	flat_load_dword v2, v[100:101] glc dlc
	s_waitcnt vmcnt(0) lgkmcnt(0)
	v_cvt_f64_f32_e32 v[2:3], v2
	v_add_f64 v[0:1], v[0:1], v[2:3]
	flat_load_dword v2, v[102:103] glc dlc
	s_waitcnt vmcnt(0) lgkmcnt(0)
	v_cvt_f64_f32_e32 v[2:3], v2
	v_add_f64 v[0:1], v[0:1], v[2:3]
	flat_load_dword v2, v[104:105] glc dlc
	s_waitcnt vmcnt(0) lgkmcnt(0)
	v_cvt_f64_f32_e32 v[2:3], v2
	v_add_f64 v[0:1], v[0:1], v[2:3]
	flat_load_dword v2, v[106:107] glc dlc
	s_waitcnt vmcnt(0) lgkmcnt(0)
	v_cvt_f64_f32_e32 v[2:3], v2
	v_add_f64 v[0:1], v[0:1], v[2:3]
	flat_load_dword v2, v[108:109] glc dlc
	s_waitcnt vmcnt(0) lgkmcnt(0)
	v_cvt_f64_f32_e32 v[2:3], v2
	v_add_f64 v[0:1], v[0:1], v[2:3]
	flat_load_dword v2, v[110:111] glc dlc
	s_waitcnt vmcnt(0) lgkmcnt(0)
	v_cvt_f64_f32_e32 v[2:3], v2
	v_add_f64 v[0:1], v[0:1], v[2:3]
	flat_load_dword v2, v[112:113] glc dlc
	s_waitcnt vmcnt(0) lgkmcnt(0)
	v_cvt_f64_f32_e32 v[2:3], v2
	v_add_f64 v[0:1], v[0:1], v[2:3]
	flat_load_dword v2, v[114:115] glc dlc
	s_waitcnt vmcnt(0) lgkmcnt(0)
	v_cvt_f64_f32_e32 v[2:3], v2
	v_add_f64 v[0:1], v[0:1], v[2:3]
	flat_load_dword v2, v[116:117] glc dlc
	s_waitcnt vmcnt(0) lgkmcnt(0)
	v_cvt_f64_f32_e32 v[2:3], v2
	v_add_f64 v[0:1], v[0:1], v[2:3]
	flat_load_dword v2, v[118:119] glc dlc
	s_waitcnt vmcnt(0) lgkmcnt(0)
	v_cvt_f64_f32_e32 v[2:3], v2
	v_add_f64 v[0:1], v[0:1], v[2:3]
	flat_load_dword v2, v[120:121] glc dlc
	s_waitcnt vmcnt(0) lgkmcnt(0)
	v_cvt_f64_f32_e32 v[2:3], v2
	v_add_f64 v[0:1], v[0:1], v[2:3]
	flat_load_dword v2, v[122:123] glc dlc
	s_waitcnt vmcnt(0) lgkmcnt(0)
	v_cvt_f64_f32_e32 v[2:3], v2
	v_add_f64 v[0:1], v[0:1], v[2:3]
	flat_load_dword v2, v[124:125] glc dlc
	s_waitcnt vmcnt(0) lgkmcnt(0)
	v_cvt_f64_f32_e32 v[2:3], v2
	v_add_f64 v[0:1], v[0:1], v[2:3]
	flat_load_dword v2, v[126:127] glc dlc
	s_waitcnt vmcnt(0) lgkmcnt(0)
	v_cvt_f64_f32_e32 v[2:3], v2
	v_add_f64 v[0:1], v[0:1], v[2:3]
	flat_load_dword v2, v[72:73] glc dlc
	s_waitcnt vmcnt(0) lgkmcnt(0)
	v_cvt_f64_f32_e32 v[2:3], v2
	v_add_f64 v[0:1], v[0:1], v[2:3]
	flat_load_dword v2, v[70:71] glc dlc
	s_waitcnt vmcnt(0) lgkmcnt(0)
	v_cvt_f64_f32_e32 v[2:3], v2
	v_add_f64 v[0:1], v[0:1], v[2:3]
	flat_load_dword v2, v[68:69] glc dlc
	s_waitcnt vmcnt(0) lgkmcnt(0)
	v_cvt_f64_f32_e32 v[2:3], v2
	v_add_f64 v[0:1], v[0:1], v[2:3]
	flat_load_dword v2, v[36:37] glc dlc
	s_waitcnt vmcnt(0) lgkmcnt(0)
	v_cvt_f64_f32_e32 v[2:3], v2
	v_add_f64 v[0:1], v[0:1], v[2:3]
	flat_load_dwordx2 v[2:3], v[44:45] glc dlc
	s_waitcnt vmcnt(0) lgkmcnt(0)
	v_add_f64 v[0:1], v[0:1], v[2:3]
	flat_store_dwordx2 v[44:45], v[0:1]
	s_waitcnt_vscnt null, 0x0
.LBB1_192:                              ;   in Loop: Header=BB1_19 Depth=1
	s_or_b32 exec_lo, exec_lo, s4
	v_cndmask_b32_e64 v0, 0, 1, s14
	v_cmp_ne_u32_e32 vcc_lo, 0, v0
	s_and_saveexec_b32 s4, s12
	s_cbranch_execz .LBB1_194
; %bb.193:                              ;   in Loop: Header=BB1_19 Depth=1
	flat_load_dword v0, v[62:63] glc dlc
	s_waitcnt vmcnt(0)
	s_bcnt1_i32_b32 s5, vcc_lo
	s_waitcnt lgkmcnt(0)
	v_add_nc_u32_e32 v0, s5, v0
	flat_store_dword v[62:63], v0
	s_waitcnt_vscnt null, 0x0
	flat_load_dword v0, v[56:57] glc dlc
	s_waitcnt vmcnt(0) lgkmcnt(0)
	v_add_nc_u32_e32 v0, 1, v0
	flat_store_dword v[56:57], v0
	s_waitcnt_vscnt null, 0x0
.LBB1_194:                              ;   in Loop: Header=BB1_19 Depth=1
	s_or_b32 exec_lo, exec_lo, s4
.LBB1_195:                              ;   in Loop: Header=BB1_19 Depth=1
	s_or_b32 s9, s13, s14
	v_cndmask_b32_e64 v0, 0, 1, s9
	v_cmp_ne_u32_e32 vcc_lo, 0, v0
	s_cmp_eq_u32 vcc_lo, exec_lo
	s_cbranch_scc1 .LBB1_211
; %bb.196:                              ;   in Loop: Header=BB1_19 Depth=1
	v_mov_b32_e32 v0, 1
	v_cmp_eq_u16_sdwa s4, v39, v0 src0_sel:BYTE_0 src1_sel:DWORD
	s_mov_b32 vcc_lo, s4
	s_cbranch_vccz .LBB1_293
; %bb.197:                              ;   in Loop: Header=BB1_19 Depth=1
	s_and_saveexec_b32 s13, s4
	s_cbranch_execz .LBB1_290
; %bb.198:                              ;   in Loop: Header=BB1_19 Depth=1
	v_cmp_eq_u16_sdwa s5, v64, v47 src0_sel:BYTE_0 src1_sel:DWORD
	v_cmp_eq_u32_e32 vcc_lo, 0, v60
	s_and_b32 s5, s5, vcc_lo
	s_waitcnt vmcnt(0)
	v_cmp_neq_f32_e32 vcc_lo, 0, v26
	s_and_b32 s5, s5, vcc_lo
	s_and_saveexec_b32 s14, s5
	s_cbranch_execz .LBB1_289
; %bb.199:                              ;   in Loop: Header=BB1_19 Depth=1
	v_sub_f32_e32 v0, s26, v35
	s_mov_b32 s30, exec_lo
	v_div_scale_f32 v1, null, v26, v26, v0
	v_rcp_f32_e32 v2, v1
	v_fma_f32 v3, -v1, v2, 1.0
	v_fmac_f32_e32 v2, v3, v2
	v_div_scale_f32 v3, vcc_lo, v0, v26, v0
	v_mul_f32_e32 v4, v3, v2
	v_fma_f32 v5, -v1, v4, v3
	v_fmac_f32_e32 v4, v5, v2
	v_fma_f32 v1, -v1, v4, v3
	v_div_fmas_f32 v1, v1, v2, v4
	v_div_fixup_f32 v1, v1, v26, v0
	v_cmpx_ngt_f32_e32 0, v1
	s_cbranch_execz .LBB1_288
; %bb.200:                              ;   in Loop: Header=BB1_19 Depth=1
	v_fma_f32 v0, v24, v1, v20
	v_subrev_f32_e32 v0, s24, v0
	v_div_scale_f32 v2, null, s36, s36, v0
	v_div_scale_f32 v5, vcc_lo, v0, s36, v0
	v_rcp_f32_e32 v3, v2
	v_fma_f32 v4, -v2, v3, 1.0
	v_fmac_f32_e32 v3, v4, v3
	v_mul_f32_e32 v4, v5, v3
	v_fma_f32 v6, -v2, v4, v5
	v_fmac_f32_e32 v4, v6, v3
	v_fma_f32 v2, -v2, v4, v5
	v_div_fmas_f32 v2, v2, v3, v4
	v_div_fixup_f32 v0, v2, s36, v0
	buffer_load_dword v2, off, s[0:3], 0 offset:68 ; 4-byte Folded Reload
	s_waitcnt vmcnt(0)
	v_add_f32_e32 v3, v0, v2
	v_floor_f32_e32 v2, v3
	v_sub_nc_u32_e32 v0, 0x80000000, v3
	v_cmp_gt_i32_e32 vcc_lo, 0, v3
	v_sub_nc_u32_e32 v5, 0x80000000, v2
	v_cndmask_b32_e32 v4, v3, v0, vcc_lo
	v_cmp_gt_i32_e32 vcc_lo, 0, v2
	v_cndmask_b32_e32 v0, v2, v5, vcc_lo
	v_sub_nc_u32_e32 v0, v4, v0
	v_sub_nc_u32_e32 v5, 0, v0
	v_max_i32_e32 v0, v0, v5
	v_cmp_lt_u32_e32 vcc_lo, 20, v0
	v_mov_b32_e32 v0, 1
	s_and_saveexec_b32 s5, vcc_lo
	s_cbranch_execz .LBB1_202
; %bb.201:                              ;   in Loop: Header=BB1_19 Depth=1
	v_ceil_f32_e32 v0, v3
	v_sub_nc_u32_e32 v3, 0x80000000, v0
	v_cmp_gt_i32_e32 vcc_lo, 0, v0
	v_cndmask_b32_e32 v3, v0, v3, vcc_lo
	v_sub_nc_u32_e32 v3, v4, v3
	v_sub_nc_u32_e32 v4, 0, v3
	v_max_i32_e32 v3, v3, v4
	v_cmp_gt_u32_e32 vcc_lo, 21, v3
	v_cndmask_b32_e32 v2, v2, v0, vcc_lo
	v_cndmask_b32_e64 v0, 0, 1, vcc_lo
.LBB1_202:                              ;   in Loop: Header=BB1_19 Depth=1
	s_or_b32 exec_lo, exec_lo, s5
	v_fma_f32 v1, v25, v1, v34
	v_subrev_f32_e32 v1, s25, v1
	v_div_scale_f32 v3, null, s37, s37, v1
	v_div_scale_f32 v6, vcc_lo, v1, s37, v1
	v_rcp_f32_e32 v4, v3
	v_fma_f32 v5, -v3, v4, 1.0
	v_fmac_f32_e32 v4, v5, v4
	v_mul_f32_e32 v5, v6, v4
	v_fma_f32 v7, -v3, v5, v6
	v_fmac_f32_e32 v5, v7, v4
	v_fma_f32 v3, -v3, v5, v6
	v_div_fmas_f32 v3, v3, v4, v5
	v_div_fixup_f32 v1, v3, s37, v1
	buffer_load_dword v3, off, s[0:3], 0 offset:72 ; 4-byte Folded Reload
	s_waitcnt vmcnt(0)
	v_add_f32_e32 v1, v1, v3
	v_floor_f32_e32 v3, v1
	v_sub_nc_u32_e32 v4, 0x80000000, v1
	v_cmp_gt_i32_e32 vcc_lo, 0, v1
	v_sub_nc_u32_e32 v6, 0x80000000, v3
	v_cndmask_b32_e32 v5, v1, v4, vcc_lo
	v_cmp_gt_i32_e32 vcc_lo, 0, v3
	v_cndmask_b32_e32 v4, v3, v6, vcc_lo
	v_sub_nc_u32_e32 v4, v5, v4
	v_sub_nc_u32_e32 v6, 0, v4
	v_max_i32_e32 v4, v4, v6
	v_cmp_lt_u32_e32 vcc_lo, 20, v4
	v_or_b32_e32 v4, 2, v0
	s_and_saveexec_b32 s5, vcc_lo
	s_xor_b32 s5, exec_lo, s5
	s_cbranch_execz .LBB1_204
; %bb.203:                              ;   in Loop: Header=BB1_19 Depth=1
	v_ceil_f32_e32 v1, v1
	v_sub_nc_u32_e32 v4, 0x80000000, v1
	v_cmp_gt_i32_e32 vcc_lo, 0, v1
	v_cndmask_b32_e32 v4, v1, v4, vcc_lo
	v_sub_nc_u32_e32 v4, v5, v4
	v_sub_nc_u32_e32 v5, 0, v4
	v_max_i32_e32 v4, v4, v5
	v_or_b32_e32 v5, 2, v0
	v_cmp_gt_u32_e32 vcc_lo, 21, v4
	v_cndmask_b32_e32 v3, v3, v1, vcc_lo
	v_cndmask_b32_e32 v4, v0, v5, vcc_lo
.LBB1_204:                              ;   in Loop: Header=BB1_19 Depth=1
	s_andn2_saveexec_b32 s5, s5
	s_or_b32 exec_lo, exec_lo, s5
	s_mov_b32 s6, 0
	s_mov_b32 s5, exec_lo
                                        ; implicit-def: $vgpr0_vgpr1
	v_cmpx_lt_i32_e32 0, v32
	s_xor_b32 s5, exec_lo, s5
	s_cbranch_execnz .LBB1_217
; %bb.205:                              ;   in Loop: Header=BB1_19 Depth=1
	s_andn2_saveexec_b32 s5, s5
	s_cbranch_execnz .LBB1_226
.LBB1_206:                              ;   in Loop: Header=BB1_19 Depth=1
	s_or_b32 exec_lo, exec_lo, s5
	s_and_saveexec_b32 s5, s6
.LBB1_207:                              ;   in Loop: Header=BB1_19 Depth=1
	v_mov_b32_e32 v0, 3
	v_mov_b32_e32 v1, 0
.LBB1_208:                              ;   in Loop: Header=BB1_19 Depth=1
	s_or_b32 exec_lo, exec_lo, s5
	v_cvt_i32_f32_e32 v13, v3
	v_cvt_i32_f32_e32 v2, v2
	s_mov_b32 s7, 0
                                        ; implicit-def: $vgpr8
                                        ; implicit-def: $vgpr3
	s_mov_b32 s5, exec_lo
	v_cmpx_lt_i32_e32 1, v4
	s_xor_b32 s31, exec_lo, s5
	s_cbranch_execnz .LBB1_227
; %bb.209:                              ;   in Loop: Header=BB1_19 Depth=1
	s_andn2_saveexec_b32 s8, s31
	s_cbranch_execnz .LBB1_263
.LBB1_210:                              ;   in Loop: Header=BB1_19 Depth=1
	s_or_b32 exec_lo, exec_lo, s8
	s_and_saveexec_b32 s5, s7
	s_cbranch_execnz .LBB1_282
	s_branch .LBB1_287
.LBB1_211:                              ;   in Loop: Header=BB1_19 Depth=1
	v_cndmask_b32_e64 v2, 0, 1, s14
	s_cbranch_execz .LBB1_18
	s_branch .LBB1_394
.LBB1_212:                              ;   in Loop: Header=BB1_19 Depth=1
	s_add_u32 s8, s10, 8
	s_addc_u32 s9, s11, 0
	s_getpc_b64 s[4:5]
	s_add_u32 s4, s4, _Z17MT_generate_arrayv@rel32@lo+4
	s_addc_u32 s5, s5, _Z17MT_generate_arrayv@rel32@hi+12
	s_swappc_b64 s[30:31], s[4:5]
	v_mov_b32_e32 v4, 0
	s_or_b32 exec_lo, exec_lo, s95
	s_and_saveexec_b32 s4, s12
	s_cbranch_execz .LBB1_189
.LBB1_213:                              ;   in Loop: Header=BB1_19 Depth=1
	flat_store_byte v[48:49], v4
	s_waitcnt_vscnt null, 0x0
	s_or_b32 exec_lo, exec_lo, s4
	v_mov_b32_e32 v0, 0
	s_and_saveexec_b32 s5, s14
	s_cbranch_execz .LBB1_190
.LBB1_214:                              ;   in Loop: Header=BB1_19 Depth=1
	v_mul_f32_e32 v0, v28, v74
	v_lshl_add_u32 v4, v4, 7, v67
	s_mov_b32 s4, exec_lo
	v_cvt_i32_f32_e32 v0, v0
	ds_read_b32 v4, v4
	v_ashrrev_i32_e32 v1, 31, v0
	v_lshlrev_b64 v[2:3], 2, v[0:1]
	v_add_co_u32 v5, vcc_lo, s42, v2
	v_add_co_ci_u32_e64 v6, null, s43, v3, vcc_lo
	global_load_dword v5, v[5:6], off
	v_cvt_f32_i32_e32 v6, v0
	v_fma_f32 v6, v28, v74, -v6
	s_waitcnt vmcnt(0)
	v_cmpx_gt_f32_e32 v6, v5
	s_cbranch_execz .LBB1_216
; %bb.215:                              ;   in Loop: Header=BB1_19 Depth=1
	v_add_co_u32 v0, vcc_lo, s76, v2
	v_add_co_ci_u32_e64 v1, null, s77, v3, vcc_lo
	global_load_dword v0, v[0:1], off
	s_waitcnt vmcnt(0)
	v_ashrrev_i32_e32 v1, 31, v0
.LBB1_216:                              ;   in Loop: Header=BB1_19 Depth=1
	s_or_b32 exec_lo, exec_lo, s4
	v_lshlrev_b64 v[0:1], 2, v[0:1]
	v_mul_f32_e32 v3, v65, v65
	v_mov_b32_e32 v60, 0
	v_mov_b32_e32 v39, 2
	;; [unrolled: 1-line block ×4, first 2 shown]
	v_add_co_u32 v0, vcc_lo, s40, v0
	v_add_co_ci_u32_e64 v1, null, s41, v1, vcc_lo
	v_mov_b32_e32 v35, s46
	v_mov_b32_e32 v64, 0
	;; [unrolled: 1-line block ×3, first 2 shown]
	global_load_dwordx2 v[21:22], v[0:1], off
	v_fma_f32 v1, v27, s49, s79
	v_subrev_f32_e32 v1, s45, v1
	v_mul_f32_e32 v2, v1, v1
	s_waitcnt vmcnt(0)
	v_sub_f32_e32 v0, v22, v21
	s_waitcnt lgkmcnt(0)
	v_fmac_f32_e32 v21, v4, v0
	v_fma_f32 v0, v23, s48, s78
	v_subrev_f32_e32 v0, s44, v0
	v_fmac_f32_e32 v2, v0, v0
	v_add_f32_e32 v2, v3, v2
	v_div_scale_f32 v3, null, v2, v2, 1.0
	v_rcp_f32_e32 v4, v3
	v_fma_f32 v5, -v3, v4, 1.0
	v_fmac_f32_e32 v4, v5, v4
	v_div_scale_f32 v5, vcc_lo, 1.0, v2, 1.0
	v_mul_f32_e32 v6, v5, v4
	v_fma_f32 v7, -v3, v6, v5
	v_fmac_f32_e32 v6, v7, v4
	v_fma_f32 v3, -v3, v6, v5
	v_div_fmas_f32 v3, v3, v4, v6
	v_div_fixup_f32 v2, v3, v2, 1.0
	v_cmp_gt_f32_e32 vcc_lo, 0xf800000, v2
	v_mul_f32_e32 v3, 0x4f800000, v2
	v_cndmask_b32_e32 v3, v2, v3, vcc_lo
	v_sqrt_f32_e32 v4, v3
	v_add_nc_u32_e32 v5, -1, v4
	v_fma_f32 v6, -v5, v4, v3
	v_cmp_ge_f32_e64 s4, 0, v6
	v_add_nc_u32_e32 v6, 1, v4
	v_cndmask_b32_e64 v5, v4, v5, s4
	v_fma_f32 v4, -v6, v4, v3
	v_cmp_lt_f32_e64 s4, 0, v4
	v_cndmask_b32_e64 v4, v5, v6, s4
	v_mul_f32_e32 v5, 0x37800000, v4
	v_cndmask_b32_e32 v4, v4, v5, vcc_lo
	v_cmp_class_f32_e64 vcc_lo, v3, 0x260
	v_cndmask_b32_e32 v3, v4, v3, vcc_lo
	v_mul_f32_e32 v26, v65, v3
	v_mul_f32_e32 v24, v0, v3
	;; [unrolled: 1-line block ×3, first 2 shown]
	v_mul_f32_e64 v0, s50, |v26|
	v_mul_f32_e32 v22, v2, v0
	v_mov_b32_e32 v0, 0
	buffer_store_dword v0, off, s[0:3], 0   ; 4-byte Folded Spill
	v_mov_b32_e32 v0, v22
	s_or_b32 exec_lo, exec_lo, s5
	flat_store_dword v[58:59], v0
	s_waitcnt_vscnt null, 0x0
	s_and_saveexec_b32 s4, s12
	s_cbranch_execnz .LBB1_191
	s_branch .LBB1_192
.LBB1_217:                              ;   in Loop: Header=BB1_19 Depth=1
	s_mov_b32 s7, exec_lo
	v_cmpx_lt_i32_e32 0xffff, v32
	s_xor_b32 s7, exec_lo, s7
	s_cbranch_execz .LBB1_221
; %bb.218:                              ;   in Loop: Header=BB1_19 Depth=1
	s_mov_b32 s6, -1
	s_mov_b32 s8, exec_lo
	v_cmpx_eq_u32_e32 0x10000, v32
; %bb.219:                              ;   in Loop: Header=BB1_19 Depth=1
	s_xor_b32 s6, exec_lo, -1
; %bb.220:                              ;   in Loop: Header=BB1_19 Depth=1
	s_or_b32 exec_lo, exec_lo, s8
	s_and_b32 s6, s6, exec_lo
.LBB1_221:                              ;   in Loop: Header=BB1_19 Depth=1
	s_or_saveexec_b32 s7, s7
	v_mov_b32_e32 v0, 2
	v_mov_b32_e32 v1, 0
	s_xor_b32 exec_lo, exec_lo, s7
	s_cbranch_execz .LBB1_225
; %bb.222:                              ;   in Loop: Header=BB1_19 Depth=1
	s_mov_b32 s8, -1
	s_mov_b32 s31, exec_lo
	v_cmpx_eq_u32_e32 1, v32
; %bb.223:                              ;   in Loop: Header=BB1_19 Depth=1
	s_xor_b32 s8, exec_lo, -1
; %bb.224:                              ;   in Loop: Header=BB1_19 Depth=1
	s_or_b32 exec_lo, exec_lo, s31
	v_mov_b32_e32 v0, 1
	v_mov_b32_e32 v1, 0
	s_andn2_b32 s6, s6, exec_lo
	s_and_b32 s8, s8, exec_lo
	s_or_b32 s6, s6, s8
.LBB1_225:                              ;   in Loop: Header=BB1_19 Depth=1
	s_or_b32 exec_lo, exec_lo, s7
	s_and_b32 s6, s6, exec_lo
	s_andn2_saveexec_b32 s5, s5
	s_cbranch_execz .LBB1_206
.LBB1_226:                              ;   in Loop: Header=BB1_19 Depth=1
	v_mov_b32_e32 v33, v47
	v_cmp_ne_u32_e32 vcc_lo, 0, v32
	v_mov_b32_e32 v0, v32
	s_andn2_b32 s6, s6, exec_lo
	v_mov_b32_e32 v1, v33
	s_and_b32 s7, vcc_lo, exec_lo
	s_or_b32 s6, s6, s7
	s_or_b32 exec_lo, exec_lo, s5
	s_and_saveexec_b32 s5, s6
	s_cbranch_execnz .LBB1_207
	s_branch .LBB1_208
.LBB1_227:                              ;   in Loop: Header=BB1_19 Depth=1
                                        ; implicit-def: $vgpr3
	s_mov_b32 s5, exec_lo
	v_cmpx_lt_i32_e32 2, v4
	s_xor_b32 s95, exec_lo, s5
	s_cbranch_execz .LBB1_251
; %bb.228:                              ;   in Loop: Header=BB1_19 Depth=1
	v_mul_f32_e32 v22, 0x3e800000, v22
	v_cmp_lt_i32_e64 s5, -1, v2
	v_mul_f32_e32 v21, v22, v21
	s_and_saveexec_b32 s7, s5
	s_cbranch_execz .LBB1_234
; %bb.229:                              ;   in Loop: Header=BB1_19 Depth=1
	v_cmp_gt_i32_e32 vcc_lo, s38, v2
	v_cmp_lt_i32_e64 s6, -1, v13
	s_and_b32 s6, vcc_lo, s6
	v_cmp_gt_i32_e32 vcc_lo, s39, v13
	s_and_b32 s6, s6, vcc_lo
	s_and_b32 exec_lo, exec_lo, s6
	s_cbranch_execz .LBB1_234
; %bb.230:                              ;   in Loop: Header=BB1_19 Depth=1
	v_lshlrev_b64 v[3:4], 3, v[0:1]
	s_mov_b32 s6, 0
	v_add_co_u32 v5, vcc_lo, s52, v3
	v_add_co_ci_u32_e64 v6, null, s53, v4, vcc_lo
	global_load_dwordx2 v[7:8], v[5:6], off
	v_mad_u64_u32 v[5:6], null, s38, v13, v[2:3]
	v_mov_b32_e32 v6, v47
	v_lshlrev_b64 v[5:6], 2, v[5:6]
	s_waitcnt vmcnt(0)
	v_add_co_u32 v7, vcc_lo, v7, v5
	v_add_co_ci_u32_e64 v8, null, v8, v6, vcc_lo
	global_load_dword v10, v[7:8], off
.LBB1_231:                              ;   Parent Loop BB1_19 Depth=1
                                        ; =>  This Inner Loop Header: Depth=2
	s_waitcnt vmcnt(0)
	v_add_f32_e32 v9, v10, v22
	global_atomic_cmpswap v9, v[7:8], v[9:10], off glc
	s_waitcnt vmcnt(0)
	v_cmp_eq_u32_e32 vcc_lo, v9, v10
	v_mov_b32_e32 v10, v9
	s_or_b32 s6, vcc_lo, s6
	s_andn2_b32 exec_lo, exec_lo, s6
	s_cbranch_execnz .LBB1_231
; %bb.232:                              ;   in Loop: Header=BB1_19 Depth=1
	s_or_b32 exec_lo, exec_lo, s6
	v_add_co_u32 v3, vcc_lo, s54, v3
	v_add_co_ci_u32_e64 v4, null, s55, v4, vcc_lo
	s_mov_b32 s6, 0
	global_load_dwordx2 v[3:4], v[3:4], off
	s_waitcnt vmcnt(0)
	v_add_co_u32 v3, vcc_lo, v3, v5
	v_add_co_ci_u32_e64 v4, null, v4, v6, vcc_lo
	global_load_dword v6, v[3:4], off
.LBB1_233:                              ;   Parent Loop BB1_19 Depth=1
                                        ; =>  This Inner Loop Header: Depth=2
	s_waitcnt vmcnt(0)
	v_add_f32_e32 v5, v6, v21
	global_atomic_cmpswap v5, v[3:4], v[5:6], off glc
	s_waitcnt vmcnt(0)
	v_cmp_eq_u32_e32 vcc_lo, v5, v6
	v_mov_b32_e32 v6, v5
	s_or_b32 s6, vcc_lo, s6
	s_andn2_b32 exec_lo, exec_lo, s6
	s_cbranch_execnz .LBB1_233
.LBB1_234:                              ;   in Loop: Header=BB1_19 Depth=1
	s_or_b32 exec_lo, exec_lo, s7
	v_add_nc_u32_e32 v4, -1, v2
	v_cmp_lt_i32_e32 vcc_lo, 0, v2
	s_and_saveexec_b32 s96, vcc_lo
	s_cbranch_execz .LBB1_240
; %bb.235:                              ;   in Loop: Header=BB1_19 Depth=1
	v_cmp_lt_i32_e64 s6, -1, v13
	v_cmp_gt_i32_e64 s7, s39, v13
	v_cmp_ge_i32_e64 s8, s38, v2
	s_and_b32 s6, s6, s7
	s_and_b32 s6, s6, s8
	s_and_b32 exec_lo, exec_lo, s6
	s_cbranch_execz .LBB1_240
; %bb.236:                              ;   in Loop: Header=BB1_19 Depth=1
	v_lshlrev_b64 v[5:6], 3, v[0:1]
	s_mov_b32 s7, 0
	v_add_co_u32 v7, s6, s52, v5
	v_add_co_ci_u32_e64 v8, null, s53, v6, s6
	global_load_dwordx2 v[9:10], v[7:8], off
	v_mad_u64_u32 v[7:8], null, s38, v13, v[4:5]
	v_mov_b32_e32 v8, v47
	v_lshlrev_b64 v[7:8], 2, v[7:8]
	s_waitcnt vmcnt(0)
	v_add_co_u32 v9, s6, v9, v7
	v_add_co_ci_u32_e64 v10, null, v10, v8, s6
	global_load_dword v12, v[9:10], off
.LBB1_237:                              ;   Parent Loop BB1_19 Depth=1
                                        ; =>  This Inner Loop Header: Depth=2
	s_waitcnt vmcnt(0)
	v_add_f32_e32 v11, v12, v22
	global_atomic_cmpswap v3, v[9:10], v[11:12], off glc
	s_waitcnt vmcnt(0)
	v_cmp_eq_u32_e64 s6, v3, v12
	v_mov_b32_e32 v12, v3
	s_or_b32 s7, s6, s7
	s_andn2_b32 exec_lo, exec_lo, s7
	s_cbranch_execnz .LBB1_237
; %bb.238:                              ;   in Loop: Header=BB1_19 Depth=1
	s_or_b32 exec_lo, exec_lo, s7
	v_add_co_u32 v5, s6, s54, v5
	v_add_co_ci_u32_e64 v6, null, s55, v6, s6
	s_mov_b32 s7, 0
	global_load_dwordx2 v[5:6], v[5:6], off
	s_waitcnt vmcnt(0)
	v_add_co_u32 v5, s6, v5, v7
	v_add_co_ci_u32_e64 v6, null, v6, v8, s6
	global_load_dword v8, v[5:6], off
.LBB1_239:                              ;   Parent Loop BB1_19 Depth=1
                                        ; =>  This Inner Loop Header: Depth=2
	s_waitcnt vmcnt(0)
	v_add_f32_e32 v7, v8, v21
	global_atomic_cmpswap v3, v[5:6], v[7:8], off glc
	s_waitcnt vmcnt(0)
	v_cmp_eq_u32_e64 s6, v3, v8
	v_mov_b32_e32 v8, v3
	s_or_b32 s7, s6, s7
	s_andn2_b32 exec_lo, exec_lo, s7
	s_cbranch_execnz .LBB1_239
.LBB1_240:                              ;   in Loop: Header=BB1_19 Depth=1
	s_or_b32 exec_lo, exec_lo, s96
	v_add_nc_u32_e32 v14, -1, v13
	s_and_saveexec_b32 s7, s5
	s_cbranch_execz .LBB1_246
; %bb.241:                              ;   in Loop: Header=BB1_19 Depth=1
	v_cmp_gt_i32_e64 s5, s38, v2
	v_cmp_lt_i32_e64 s6, 0, v13
	s_and_b32 s6, s5, s6
	v_cmp_ge_i32_e64 s5, s39, v13
	s_and_b32 s5, s6, s5
	s_and_b32 exec_lo, exec_lo, s5
	s_cbranch_execz .LBB1_246
; %bb.242:                              ;   in Loop: Header=BB1_19 Depth=1
	v_lshlrev_b64 v[5:6], 3, v[0:1]
	s_mov_b32 s6, 0
	v_add_co_u32 v7, s5, s52, v5
	v_add_co_ci_u32_e64 v8, null, s53, v6, s5
	global_load_dwordx2 v[9:10], v[7:8], off
	v_mad_u64_u32 v[7:8], null, v14, s38, v[2:3]
	v_mov_b32_e32 v8, v47
	v_lshlrev_b64 v[7:8], 2, v[7:8]
	s_waitcnt vmcnt(0)
	v_add_co_u32 v9, s5, v9, v7
	v_add_co_ci_u32_e64 v10, null, v10, v8, s5
	global_load_dword v12, v[9:10], off
.LBB1_243:                              ;   Parent Loop BB1_19 Depth=1
                                        ; =>  This Inner Loop Header: Depth=2
	s_waitcnt vmcnt(0)
	v_add_f32_e32 v11, v12, v22
	global_atomic_cmpswap v3, v[9:10], v[11:12], off glc
	s_waitcnt vmcnt(0)
	v_cmp_eq_u32_e64 s5, v3, v12
	v_mov_b32_e32 v12, v3
	s_or_b32 s6, s5, s6
	s_andn2_b32 exec_lo, exec_lo, s6
	s_cbranch_execnz .LBB1_243
; %bb.244:                              ;   in Loop: Header=BB1_19 Depth=1
	s_or_b32 exec_lo, exec_lo, s6
	v_add_co_u32 v5, s5, s54, v5
	v_add_co_ci_u32_e64 v6, null, s55, v6, s5
	s_mov_b32 s6, 0
	global_load_dwordx2 v[5:6], v[5:6], off
	s_waitcnt vmcnt(0)
	v_add_co_u32 v5, s5, v5, v7
	v_add_co_ci_u32_e64 v6, null, v6, v8, s5
	global_load_dword v8, v[5:6], off
.LBB1_245:                              ;   Parent Loop BB1_19 Depth=1
                                        ; =>  This Inner Loop Header: Depth=2
	s_waitcnt vmcnt(0)
	v_add_f32_e32 v7, v8, v21
	global_atomic_cmpswap v3, v[5:6], v[7:8], off glc
	s_waitcnt vmcnt(0)
	v_cmp_eq_u32_e64 s5, v3, v8
	v_mov_b32_e32 v8, v3
	s_or_b32 s6, s5, s6
	s_andn2_b32 exec_lo, exec_lo, s6
	s_cbranch_execnz .LBB1_245
.LBB1_246:                              ;   in Loop: Header=BB1_19 Depth=1
	s_or_b32 exec_lo, exec_lo, s7
	s_mov_b32 s5, 0
                                        ; implicit-def: $vgpr3
	s_and_saveexec_b32 s7, vcc_lo
	s_cbranch_execz .LBB1_250
; %bb.247:                              ;   in Loop: Header=BB1_19 Depth=1
	v_cmp_ge_i32_e32 vcc_lo, s38, v2
	v_cmp_ge_i32_e64 s5, s39, v13
	v_cmp_lt_i32_e64 s6, 0, v13
                                        ; implicit-def: $vgpr3
	s_and_b32 s5, vcc_lo, s5
	s_and_b32 s6, s5, s6
	s_mov_b32 s5, 0
	s_and_saveexec_b32 s8, s6
	s_xor_b32 s6, exec_lo, s8
; %bb.248:                              ;   in Loop: Header=BB1_19 Depth=1
	s_mov_b32 s5, exec_lo
	v_mad_u64_u32 v[3:4], null, v14, s38, v[4:5]
; %bb.249:                              ;   in Loop: Header=BB1_19 Depth=1
	s_or_b32 exec_lo, exec_lo, s6
	s_and_b32 s5, s5, exec_lo
.LBB1_250:                              ;   in Loop: Header=BB1_19 Depth=1
	s_or_b32 exec_lo, exec_lo, s7
	s_and_b32 s7, s5, exec_lo
                                        ; implicit-def: $vgpr2
                                        ; implicit-def: $vgpr13
.LBB1_251:                              ;   in Loop: Header=BB1_19 Depth=1
	s_andn2_saveexec_b32 s8, s95
	s_cbranch_execz .LBB1_262
; %bb.252:                              ;   in Loop: Header=BB1_19 Depth=1
	v_mul_f32_e32 v22, 0.5, v22
	s_mov_b32 s5, s7
	s_mov_b32 s95, exec_lo
                                        ; implicit-def: $vgpr3
	v_mul_f32_e32 v21, v22, v21
	v_cmpx_lt_i32_e32 -1, v2
	s_cbranch_execz .LBB1_261
; %bb.253:                              ;   in Loop: Header=BB1_19 Depth=1
	v_cmp_gt_i32_e32 vcc_lo, s38, v2
	v_cmp_lt_i32_e64 s5, -1, v13
	v_cmp_gt_i32_e64 s6, s39, v13
	s_and_b32 s5, vcc_lo, s5
	s_and_b32 s5, s5, s6
	s_and_saveexec_b32 s6, s5
	s_cbranch_execz .LBB1_258
; %bb.254:                              ;   in Loop: Header=BB1_19 Depth=1
	v_lshlrev_b64 v[3:4], 3, v[0:1]
	s_mov_b32 s96, 0
	v_add_co_u32 v5, s5, s52, v3
	v_add_co_ci_u32_e64 v6, null, s53, v4, s5
	global_load_dwordx2 v[7:8], v[5:6], off
	v_mad_u64_u32 v[5:6], null, s38, v13, v[2:3]
	v_mov_b32_e32 v6, v47
	v_lshlrev_b64 v[5:6], 2, v[5:6]
	s_waitcnt vmcnt(0)
	v_add_co_u32 v7, s5, v7, v5
	v_add_co_ci_u32_e64 v8, null, v8, v6, s5
	global_load_dword v10, v[7:8], off
.LBB1_255:                              ;   Parent Loop BB1_19 Depth=1
                                        ; =>  This Inner Loop Header: Depth=2
	s_waitcnt vmcnt(0)
	v_add_f32_e32 v9, v10, v22
	global_atomic_cmpswap v9, v[7:8], v[9:10], off glc
	s_waitcnt vmcnt(0)
	v_cmp_eq_u32_e64 s5, v9, v10
	v_mov_b32_e32 v10, v9
	s_or_b32 s96, s5, s96
	s_andn2_b32 exec_lo, exec_lo, s96
	s_cbranch_execnz .LBB1_255
; %bb.256:                              ;   in Loop: Header=BB1_19 Depth=1
	s_or_b32 exec_lo, exec_lo, s96
	v_add_co_u32 v3, s5, s54, v3
	v_add_co_ci_u32_e64 v4, null, s55, v4, s5
	s_mov_b32 s96, 0
	global_load_dwordx2 v[3:4], v[3:4], off
	s_waitcnt vmcnt(0)
	v_add_co_u32 v3, s5, v3, v5
	v_add_co_ci_u32_e64 v4, null, v4, v6, s5
	global_load_dword v6, v[3:4], off
.LBB1_257:                              ;   Parent Loop BB1_19 Depth=1
                                        ; =>  This Inner Loop Header: Depth=2
	s_waitcnt vmcnt(0)
	v_add_f32_e32 v5, v6, v21
	global_atomic_cmpswap v5, v[3:4], v[5:6], off glc
	s_waitcnt vmcnt(0)
	v_cmp_eq_u32_e64 s5, v5, v6
	v_mov_b32_e32 v6, v5
	s_or_b32 s96, s5, s96
	s_andn2_b32 exec_lo, exec_lo, s96
	s_cbranch_execnz .LBB1_257
.LBB1_258:                              ;   in Loop: Header=BB1_19 Depth=1
	s_or_b32 exec_lo, exec_lo, s6
	v_cmp_lt_i32_e64 s5, 0, v13
                                        ; implicit-def: $vgpr3
	s_and_b32 s5, vcc_lo, s5
	v_cmp_ge_i32_e32 vcc_lo, s39, v13
	s_and_b32 s6, s5, vcc_lo
	s_mov_b32 s5, s7
	s_and_saveexec_b32 s96, s6
	s_xor_b32 s6, exec_lo, s96
; %bb.259:                              ;   in Loop: Header=BB1_19 Depth=1
	v_add_nc_u32_e32 v3, -1, v13
	s_or_b32 s5, s7, exec_lo
	v_mad_u64_u32 v[3:4], null, v3, s38, v[2:3]
; %bb.260:                              ;   in Loop: Header=BB1_19 Depth=1
	s_or_b32 exec_lo, exec_lo, s6
	s_andn2_b32 s6, s7, exec_lo
	s_and_b32 s5, s5, exec_lo
	s_or_b32 s5, s6, s5
.LBB1_261:                              ;   in Loop: Header=BB1_19 Depth=1
	s_or_b32 exec_lo, exec_lo, s95
	s_andn2_b32 s6, s7, exec_lo
	s_and_b32 s5, s5, exec_lo
	s_or_b32 s7, s6, s5
.LBB1_262:                              ;   in Loop: Header=BB1_19 Depth=1
	s_or_b32 exec_lo, exec_lo, s8
	v_mov_b32_e32 v8, v21
	s_and_b32 s7, s7, exec_lo
                                        ; implicit-def: $vgpr4
                                        ; implicit-def: $vgpr2
                                        ; implicit-def: $vgpr13
	s_andn2_saveexec_b32 s8, s31
	s_cbranch_execz .LBB1_210
.LBB1_263:                              ;   in Loop: Header=BB1_19 Depth=1
	s_mov_b32 s31, s7
                                        ; implicit-def: $vgpr8
                                        ; implicit-def: $vgpr3
	s_mov_b32 s5, exec_lo
	v_cmpx_ne_u32_e32 1, v4
	s_xor_b32 s6, exec_lo, s5
	s_cbranch_execz .LBB1_269
; %bb.264:                              ;   in Loop: Header=BB1_19 Depth=1
	s_mov_b32 s5, s7
	s_mov_b32 s31, exec_lo
                                        ; implicit-def: $vgpr8
                                        ; implicit-def: $vgpr3
	v_cmpx_lt_i32_e32 -1, v2
	s_cbranch_execz .LBB1_268
; %bb.265:                              ;   in Loop: Header=BB1_19 Depth=1
	v_cmp_gt_i32_e32 vcc_lo, s38, v2
	v_cmp_lt_i32_e64 s5, -1, v13
                                        ; implicit-def: $vgpr8
                                        ; implicit-def: $vgpr3
	s_and_b32 s5, vcc_lo, s5
	v_cmp_gt_i32_e32 vcc_lo, s39, v13
	s_and_b32 s96, s5, vcc_lo
	s_mov_b32 s5, s7
	s_and_saveexec_b32 s95, s96
; %bb.266:                              ;   in Loop: Header=BB1_19 Depth=1
	v_mad_u64_u32 v[3:4], null, s38, v13, v[2:3]
	v_mul_f32_e32 v8, v22, v21
	s_or_b32 s5, s7, exec_lo
; %bb.267:                              ;   in Loop: Header=BB1_19 Depth=1
	s_or_b32 exec_lo, exec_lo, s95
	s_andn2_b32 s95, s7, exec_lo
	s_and_b32 s5, s5, exec_lo
	s_or_b32 s5, s95, s5
.LBB1_268:                              ;   in Loop: Header=BB1_19 Depth=1
	s_or_b32 exec_lo, exec_lo, s31
	s_andn2_b32 s31, s7, exec_lo
	s_and_b32 s5, s5, exec_lo
                                        ; implicit-def: $vgpr2
                                        ; implicit-def: $vgpr13
	s_or_b32 s31, s31, s5
.LBB1_269:                              ;   in Loop: Header=BB1_19 Depth=1
	s_andn2_saveexec_b32 s95, s6
	s_cbranch_execz .LBB1_281
; %bb.270:                              ;   in Loop: Header=BB1_19 Depth=1
	v_mul_f32_e32 v22, 0.5, v22
	s_mov_b32 s6, exec_lo
	v_mul_f32_e32 v21, v22, v21
	v_cmpx_lt_i32_e32 -1, v2
	s_cbranch_execz .LBB1_276
; %bb.271:                              ;   in Loop: Header=BB1_19 Depth=1
	v_cmp_gt_i32_e32 vcc_lo, s38, v2
	v_cmp_lt_i32_e64 s5, -1, v13
	s_and_b32 s5, vcc_lo, s5
	v_cmp_gt_i32_e32 vcc_lo, s39, v13
	s_and_b32 s5, s5, vcc_lo
	s_and_b32 exec_lo, exec_lo, s5
	s_cbranch_execz .LBB1_276
; %bb.272:                              ;   in Loop: Header=BB1_19 Depth=1
	v_lshlrev_b64 v[3:4], 3, v[0:1]
	s_mov_b32 s5, 0
	v_add_co_u32 v5, vcc_lo, s52, v3
	v_add_co_ci_u32_e64 v6, null, s53, v4, vcc_lo
	global_load_dwordx2 v[7:8], v[5:6], off
	v_mad_u64_u32 v[5:6], null, s38, v13, v[2:3]
	v_mov_b32_e32 v6, v47
	v_lshlrev_b64 v[5:6], 2, v[5:6]
	s_waitcnt vmcnt(0)
	v_add_co_u32 v7, vcc_lo, v7, v5
	v_add_co_ci_u32_e64 v8, null, v8, v6, vcc_lo
	global_load_dword v10, v[7:8], off
.LBB1_273:                              ;   Parent Loop BB1_19 Depth=1
                                        ; =>  This Inner Loop Header: Depth=2
	s_waitcnt vmcnt(0)
	v_add_f32_e32 v9, v10, v22
	global_atomic_cmpswap v9, v[7:8], v[9:10], off glc
	s_waitcnt vmcnt(0)
	v_cmp_eq_u32_e32 vcc_lo, v9, v10
	v_mov_b32_e32 v10, v9
	s_or_b32 s5, vcc_lo, s5
	s_andn2_b32 exec_lo, exec_lo, s5
	s_cbranch_execnz .LBB1_273
; %bb.274:                              ;   in Loop: Header=BB1_19 Depth=1
	s_or_b32 exec_lo, exec_lo, s5
	v_add_co_u32 v3, vcc_lo, s54, v3
	v_add_co_ci_u32_e64 v4, null, s55, v4, vcc_lo
	s_mov_b32 s5, 0
	global_load_dwordx2 v[3:4], v[3:4], off
	s_waitcnt vmcnt(0)
	v_add_co_u32 v3, vcc_lo, v3, v5
	v_add_co_ci_u32_e64 v4, null, v4, v6, vcc_lo
	global_load_dword v6, v[3:4], off
.LBB1_275:                              ;   Parent Loop BB1_19 Depth=1
                                        ; =>  This Inner Loop Header: Depth=2
	s_waitcnt vmcnt(0)
	v_add_f32_e32 v5, v6, v21
	global_atomic_cmpswap v5, v[3:4], v[5:6], off glc
	s_waitcnt vmcnt(0)
	v_cmp_eq_u32_e32 vcc_lo, v5, v6
	v_mov_b32_e32 v6, v5
	s_or_b32 s5, vcc_lo, s5
	s_andn2_b32 exec_lo, exec_lo, s5
	s_cbranch_execnz .LBB1_275
.LBB1_276:                              ;   in Loop: Header=BB1_19 Depth=1
	s_or_b32 exec_lo, exec_lo, s6
	s_mov_b32 s5, s31
	s_mov_b32 s96, exec_lo
                                        ; implicit-def: $vgpr3
	v_cmpx_lt_i32_e32 0, v2
	s_cbranch_execz .LBB1_280
; %bb.277:                              ;   in Loop: Header=BB1_19 Depth=1
	v_cmp_lt_i32_e32 vcc_lo, -1, v13
	v_cmp_gt_i32_e64 s5, s39, v13
	v_cmp_ge_i32_e64 s6, s38, v2
                                        ; implicit-def: $vgpr3
	s_and_b32 s5, vcc_lo, s5
	s_and_b32 s97, s5, s6
	s_mov_b32 s5, s31
	s_and_saveexec_b32 s6, s97
; %bb.278:                              ;   in Loop: Header=BB1_19 Depth=1
	v_mul_lo_u32 v3, s38, v13
	s_or_b32 s5, s31, exec_lo
	v_add3_u32 v3, v2, v3, -1
; %bb.279:                              ;   in Loop: Header=BB1_19 Depth=1
	s_or_b32 exec_lo, exec_lo, s6
	s_andn2_b32 s6, s31, exec_lo
	s_and_b32 s5, s5, exec_lo
	s_or_b32 s5, s6, s5
.LBB1_280:                              ;   in Loop: Header=BB1_19 Depth=1
	s_or_b32 exec_lo, exec_lo, s96
	v_mov_b32_e32 v8, v21
	s_andn2_b32 s6, s31, exec_lo
	s_and_b32 s5, s5, exec_lo
	s_or_b32 s31, s6, s5
.LBB1_281:                              ;   in Loop: Header=BB1_19 Depth=1
	s_or_b32 exec_lo, exec_lo, s95
	s_andn2_b32 s5, s7, exec_lo
	s_and_b32 s6, s31, exec_lo
	s_or_b32 s7, s5, s6
	s_or_b32 exec_lo, exec_lo, s8
	s_and_saveexec_b32 s5, s7
	s_cbranch_execz .LBB1_287
.LBB1_282:                              ;   in Loop: Header=BB1_19 Depth=1
	v_lshlrev_b64 v[0:1], 3, v[0:1]
	s_mov_b32 s6, 0
	v_add_co_u32 v4, vcc_lo, s52, v0
	v_add_co_ci_u32_e64 v5, null, s53, v1, vcc_lo
	global_load_dwordx2 v[5:6], v[4:5], off
	v_mov_b32_e32 v4, v47
	v_lshlrev_b64 v[2:3], 2, v[3:4]
	s_waitcnt vmcnt(0)
	v_add_co_u32 v4, vcc_lo, v5, v2
	v_add_co_ci_u32_e64 v5, null, v6, v3, vcc_lo
	global_load_dword v7, v[4:5], off
.LBB1_283:                              ;   Parent Loop BB1_19 Depth=1
                                        ; =>  This Inner Loop Header: Depth=2
	s_waitcnt vmcnt(0)
	v_add_f32_e32 v6, v7, v22
	global_atomic_cmpswap v6, v[4:5], v[6:7], off glc
	s_waitcnt vmcnt(0)
	v_cmp_eq_u32_e32 vcc_lo, v6, v7
	v_mov_b32_e32 v7, v6
	s_or_b32 s6, vcc_lo, s6
	s_andn2_b32 exec_lo, exec_lo, s6
	s_cbranch_execnz .LBB1_283
; %bb.284:                              ;   in Loop: Header=BB1_19 Depth=1
	s_or_b32 exec_lo, exec_lo, s6
	v_add_co_u32 v0, vcc_lo, s54, v0
	v_add_co_ci_u32_e64 v1, null, s55, v1, vcc_lo
	s_mov_b32 s6, 0
	global_load_dwordx2 v[0:1], v[0:1], off
	s_waitcnt vmcnt(0)
	v_add_co_u32 v0, vcc_lo, v0, v2
	v_add_co_ci_u32_e64 v1, null, v1, v3, vcc_lo
	global_load_dword v3, v[0:1], off
.LBB1_285:                              ;   Parent Loop BB1_19 Depth=1
                                        ; =>  This Inner Loop Header: Depth=2
	s_waitcnt vmcnt(0)
	v_add_f32_e32 v2, v3, v8
	global_atomic_cmpswap v2, v[0:1], v[2:3], off glc
	s_waitcnt vmcnt(0)
	v_cmp_eq_u32_e32 vcc_lo, v2, v3
	v_mov_b32_e32 v3, v2
	s_or_b32 s6, vcc_lo, s6
	s_andn2_b32 exec_lo, exec_lo, s6
	s_cbranch_execnz .LBB1_285
; %bb.286:                              ;   in Loop: Header=BB1_19 Depth=1
	s_or_b32 exec_lo, exec_lo, s6
.LBB1_287:                              ;   in Loop: Header=BB1_19 Depth=1
	s_or_b32 exec_lo, exec_lo, s5
.LBB1_288:                              ;   in Loop: Header=BB1_19 Depth=1
	s_or_b32 exec_lo, exec_lo, s30
.LBB1_289:                              ;   in Loop: Header=BB1_19 Depth=1
	s_or_b32 exec_lo, exec_lo, s14
	v_mov_b32_e32 v39, 8
.LBB1_290:                              ;   in Loop: Header=BB1_19 Depth=1
	s_or_b32 exec_lo, exec_lo, s13
	v_cndmask_b32_e64 v0, 0, 1, s4
	v_cmp_ne_u32_e32 vcc_lo, 0, v0
	s_and_saveexec_b32 s5, s12
	s_cbranch_execz .LBB1_292
; %bb.291:                              ;   in Loop: Header=BB1_19 Depth=1
	s_clause 0x1
	buffer_load_dword v1, off, s[0:3], 0 offset:28
	buffer_load_dword v2, off, s[0:3], 0 offset:32
	s_bcnt1_i32_b32 s6, vcc_lo
	s_waitcnt vmcnt(0)
	flat_load_dword v0, v[1:2] glc dlc
	s_waitcnt vmcnt(0) lgkmcnt(0)
	v_add_nc_u32_e32 v0, s6, v0
	flat_store_dword v[1:2], v0
	s_waitcnt_vscnt null, 0x0
	flat_load_dword v0, v[56:57] glc dlc
	s_waitcnt vmcnt(0) lgkmcnt(0)
	v_add_nc_u32_e32 v0, 1, v0
	flat_store_dword v[56:57], v0
	s_waitcnt_vscnt null, 0x0
.LBB1_292:                              ;   in Loop: Header=BB1_19 Depth=1
	s_or_b32 exec_lo, exec_lo, s5
.LBB1_293:                              ;   in Loop: Header=BB1_19 Depth=1
	s_or_b32 s95, s9, s4
	v_cndmask_b32_e64 v0, 0, 1, s95
	v_cmp_ne_u32_e32 vcc_lo, 0, v0
	s_cmp_eq_u32 vcc_lo, exec_lo
	s_cbranch_scc1 .LBB1_319
; %bb.294:                              ;   in Loop: Header=BB1_19 Depth=1
	v_mov_b32_e32 v0, 4
	v_cmp_eq_u16_sdwa s13, v39, v0 src0_sel:BYTE_0 src1_sel:DWORD
	s_mov_b32 vcc_lo, s13
	s_cbranch_vccz .LBB1_333
; %bb.295:                              ;   in Loop: Header=BB1_19 Depth=1
	v_div_scale_f32 v0, null, 0x3f02d11e, 0x3f02d11e, v21
	v_mov_b32_e32 v23, 0
	v_mov_b32_e32 v61, 0
	;; [unrolled: 1-line block ×3, first 2 shown]
	v_rcp_f32_e32 v1, v0
	s_xor_b32 s96, s13, -1
	v_fma_f32 v2, -v0, v1, 1.0
	v_fmac_f32_e32 v1, v2, v1
	v_div_scale_f32 v2, vcc_lo, v21, 0x3f02d11e, v21
	v_mul_f32_e32 v3, v2, v1
	v_fma_f32 v4, -v0, v3, v2
	v_fmac_f32_e32 v3, v4, v1
	v_fma_f32 v0, -v0, v3, v2
	v_div_fmas_f32 v0, v0, v1, v3
	v_div_fixup_f32 v27, v0, 0x3f02d11e, v21
	v_fma_f32 v0, v27, 2.0, 1.0
	v_cmp_nlt_f32_e64 s14, 2.0, v27
	v_div_scale_f32 v1, null, v0, v0, 1.0
	v_mul_f32_e32 v46, v0, v0
	v_rcp_f32_e32 v2, v1
	v_fma_f32 v3, -v1, v2, 1.0
	v_fmac_f32_e32 v2, v3, v2
	v_div_scale_f32 v3, vcc_lo, 1.0, v0, 1.0
	v_mul_f32_e32 v4, v3, v2
	v_fma_f32 v5, -v1, v4, v3
	v_fmac_f32_e32 v4, v5, v2
	v_fma_f32 v1, -v1, v4, v3
	v_div_fmas_f32 v1, v1, v2, v4
	v_cmp_gt_f32_e32 vcc_lo, 0x800000, v0
	v_div_fixup_f32 v28, v1, v0, 1.0
	v_cndmask_b32_e64 v1, 0, 32, vcc_lo
	v_add_f32_e32 v29, v0, v28
	v_ldexp_f32 v1, v0, v1
	v_log_f32_e32 v1, v1
	v_mul_f32_e32 v2, 0x3f317217, v1
	v_cmp_gt_f32_e64 s4, 0x7f800000, |v1|
	v_fma_f32 v2, 0x3f317217, v1, -v2
	v_fmac_f32_e32 v2, 0x3377d1cf, v1
	v_fmac_f32_e32 v2, 0x3f317217, v1
	v_cndmask_b32_e64 v1, v1, v2, s4
	v_cndmask_b32_e64 v2, 0, 0x41b17218, vcc_lo
	v_sub_f32_e32 v33, v1, v2
	v_add_f32_e32 v1, 1.0, v0
	v_mul_f32_e32 v1, v27, v1
	v_mul_f32_e32 v1, v28, v1
	v_fma_f32 v38, v28, v1, v33
	s_branch .LBB1_299
.LBB1_296:                              ;   in Loop: Header=BB1_299 Depth=2
	s_or_b32 exec_lo, exec_lo, s4
	v_mul_f32_e32 v23, v28, v1
	v_fma_f32 v1, -v28, v1, 1.0
	s_andn2_b32 s4, s6, exec_lo
	v_mul_f32_e32 v2, v27, v23
	v_div_scale_f32 v3, null, v2, v2, v1
	v_div_scale_f32 v6, vcc_lo, v1, v2, v1
	v_rcp_f32_e32 v4, v3
	v_fma_f32 v5, -v3, v4, 1.0
	v_fmac_f32_e32 v4, v5, v4
	v_mul_f32_e32 v5, v6, v4
	v_fma_f32 v7, -v3, v5, v6
	v_fmac_f32_e32 v5, v7, v4
	v_fma_f32 v3, -v3, v5, v6
	v_div_fmas_f32 v3, v3, v4, v5
	v_div_fixup_f32 v61, v3, v2, v1
	v_fma_f32 v2, v23, v23, 1.0
	v_sub_f32_e32 v1, 2.0, v61
	s_waitcnt lgkmcnt(0)
	v_mul_f32_e32 v0, v0, v2
	v_mul_f32_e32 v1, v61, v1
	v_max_f32_e32 v75, 0, v1
	v_fma_f32 v1, -v23, v75, v2
	v_cmp_lt_f32_e32 vcc_lo, v0, v1
	s_and_b32 s6, vcc_lo, exec_lo
	s_or_b32 s6, s4, s6
.LBB1_297:                              ;   in Loop: Header=BB1_299 Depth=2
	s_or_b32 exec_lo, exec_lo, s7
	s_orn2_b32 s96, s6, exec_lo
.LBB1_298:                              ;   in Loop: Header=BB1_299 Depth=2
	s_or_b32 exec_lo, exec_lo, s5
	v_cndmask_b32_e64 v0, 0, 1, s96
	v_cmp_ne_u32_e32 vcc_lo, 0, v0
	s_cmp_lg_u32 vcc_lo, exec_lo
	s_cbranch_scc0 .LBB1_320
.LBB1_299:                              ;   Parent Loop BB1_19 Depth=1
                                        ; =>  This Inner Loop Header: Depth=2
	flat_load_ubyte v0, v[48:49] glc dlc
	s_waitcnt vmcnt(0) lgkmcnt(0)
	v_cmp_lt_u32_e32 vcc_lo, 1, v0
	v_add_nc_u32_e32 v0, 1, v0
	s_and_saveexec_b32 s97, vcc_lo
	s_cbranch_execz .LBB1_301
; %bb.300:                              ;   in Loop: Header=BB1_299 Depth=2
	s_add_u32 s8, s10, 8
	s_addc_u32 s9, s11, 0
	s_getpc_b64 s[4:5]
	s_add_u32 s4, s4, _Z17MT_generate_arrayv@rel32@lo+4
	s_addc_u32 s5, s5, _Z17MT_generate_arrayv@rel32@hi+12
	s_swappc_b64 s[30:31], s[4:5]
	v_mov_b32_e32 v0, 0
.LBB1_301:                              ;   in Loop: Header=BB1_299 Depth=2
	s_or_b32 exec_lo, exec_lo, s97
	s_and_saveexec_b32 s4, s12
	s_cbranch_execz .LBB1_303
; %bb.302:                              ;   in Loop: Header=BB1_299 Depth=2
	flat_store_byte v[48:49], v0
	s_waitcnt_vscnt null, 0x0
.LBB1_303:                              ;   in Loop: Header=BB1_299 Depth=2
	s_or_b32 exec_lo, exec_lo, s4
	v_lshl_add_u32 v0, v0, 7, v67
	ds_read_b32 v77, v0
	flat_load_ubyte v0, v[48:49] glc dlc
	s_waitcnt vmcnt(0) lgkmcnt(0)
	v_cmp_lt_u32_e32 vcc_lo, 1, v0
	v_add_nc_u32_e32 v0, 1, v0
	s_and_saveexec_b32 s97, vcc_lo
	s_cbranch_execz .LBB1_305
; %bb.304:                              ;   in Loop: Header=BB1_299 Depth=2
	s_add_u32 s8, s10, 8
	s_addc_u32 s9, s11, 0
	s_getpc_b64 s[4:5]
	s_add_u32 s4, s4, _Z17MT_generate_arrayv@rel32@lo+4
	s_addc_u32 s5, s5, _Z17MT_generate_arrayv@rel32@hi+12
	s_swappc_b64 s[30:31], s[4:5]
	v_mov_b32_e32 v0, 0
.LBB1_305:                              ;   in Loop: Header=BB1_299 Depth=2
	s_or_b32 exec_lo, exec_lo, s97
	s_and_saveexec_b32 s4, s12
	s_cbranch_execz .LBB1_307
; %bb.306:                              ;   in Loop: Header=BB1_299 Depth=2
	flat_store_byte v[48:49], v0
	s_waitcnt_vscnt null, 0x0
.LBB1_307:                              ;   in Loop: Header=BB1_299 Depth=2
	s_or_b32 exec_lo, exec_lo, s4
	v_lshl_add_u32 v0, v0, 7, v67
	ds_read_b32 v76, v0
	flat_load_ubyte v0, v[48:49] glc dlc
	s_waitcnt vmcnt(0) lgkmcnt(0)
	v_cmp_lt_u32_e32 vcc_lo, 1, v0
	v_add_nc_u32_e32 v0, 1, v0
	s_and_saveexec_b32 s97, vcc_lo
	s_cbranch_execz .LBB1_309
; %bb.308:                              ;   in Loop: Header=BB1_299 Depth=2
	s_add_u32 s8, s10, 8
	s_addc_u32 s9, s11, 0
	s_getpc_b64 s[4:5]
	s_add_u32 s4, s4, _Z17MT_generate_arrayv@rel32@lo+4
	s_addc_u32 s5, s5, _Z17MT_generate_arrayv@rel32@hi+12
	s_swappc_b64 s[30:31], s[4:5]
	v_mov_b32_e32 v0, 0
.LBB1_309:                              ;   in Loop: Header=BB1_299 Depth=2
	s_or_b32 exec_lo, exec_lo, s97
	s_and_saveexec_b32 s4, s12
	s_cbranch_execz .LBB1_311
; %bb.310:                              ;   in Loop: Header=BB1_299 Depth=2
	flat_store_byte v[48:49], v0
	s_waitcnt_vscnt null, 0x0
.LBB1_311:                              ;   in Loop: Header=BB1_299 Depth=2
	s_or_b32 exec_lo, exec_lo, s4
	s_xor_b32 s4, s96, -1
	s_mov_b32 s96, -1
	s_and_saveexec_b32 s5, s4
	s_cbranch_execz .LBB1_298
; %bb.312:                              ;   in Loop: Header=BB1_299 Depth=2
                                        ; implicit-def: $sgpr6
                                        ; implicit-def: $vgpr75
                                        ; implicit-def: $vgpr61
                                        ; implicit-def: $vgpr23
	s_and_saveexec_b32 s4, s14
	s_xor_b32 s4, exec_lo, s4
	s_cbranch_execz .LBB1_314
; %bb.313:                              ;   in Loop: Header=BB1_299 Depth=2
	v_sub_f32_e32 v0, 1.0, v28
	v_fma_f32 v23, v0, v77, v28
                                        ; implicit-def: $vgpr77
	v_sub_f32_e32 v0, 1.0, v23
	v_mul_f32_e32 v1, v27, v23
	v_div_scale_f32 v2, null, v1, v1, v0
	v_div_scale_f32 v5, vcc_lo, v0, v1, v0
	v_rcp_f32_e32 v3, v2
	v_fma_f32 v4, -v2, v3, 1.0
	v_fmac_f32_e32 v3, v4, v3
	v_mul_f32_e32 v4, v5, v3
	v_fma_f32 v6, -v2, v4, v5
	v_fmac_f32_e32 v4, v6, v3
	v_fma_f32 v2, -v2, v4, v5
	v_div_fmas_f32 v2, v2, v3, v4
	v_div_fixup_f32 v61, v2, v1, v0
	v_fma_f32 v1, v23, v23, 1.0
	v_sub_f32_e32 v0, 2.0, v61
	v_mul_f32_e32 v0, v61, v0
	v_max_f32_e32 v75, 0, v0
	v_mul_f32_e32 v0, v23, v76
                                        ; implicit-def: $vgpr76
	v_fma_f32 v1, -v23, v75, v1
	v_mul_f32_e32 v0, v29, v0
	v_cmp_lt_f32_e64 s6, v0, v1
                                        ; implicit-def: $vgpr0
.LBB1_314:                              ;   in Loop: Header=BB1_299 Depth=2
	s_andn2_saveexec_b32 s7, s4
	s_cbranch_execz .LBB1_297
; %bb.315:                              ;   in Loop: Header=BB1_299 Depth=2
	v_lshl_add_u32 v0, v0, 7, v67
	v_mul_f32_e32 v1, v38, v77
	ds_read_b32 v0, v0
	v_cmp_nlt_f32_e32 vcc_lo, v1, v33
                                        ; implicit-def: $vgpr1
	s_and_saveexec_b32 s4, vcc_lo
	s_xor_b32 s8, exec_lo, s4
	s_cbranch_execz .LBB1_317
; %bb.316:                              ;   in Loop: Header=BB1_299 Depth=2
	v_fma_f32 v1, v46, v76, 1.0
	v_sub_f32_e32 v1, v1, v76
                                        ; implicit-def: $vgpr76
	v_cmp_gt_f32_e32 vcc_lo, 0xf800000, v1
	v_mul_f32_e32 v2, 0x4f800000, v1
	v_cndmask_b32_e32 v1, v1, v2, vcc_lo
	v_sqrt_f32_e32 v2, v1
	v_add_nc_u32_e32 v3, -1, v2
	v_fma_f32 v4, -v3, v2, v1
	v_cmp_ge_f32_e64 s4, 0, v4
	v_add_nc_u32_e32 v4, 1, v2
	v_cndmask_b32_e64 v3, v2, v3, s4
	v_fma_f32 v2, -v4, v2, v1
	v_cmp_lt_f32_e64 s4, 0, v2
	v_cndmask_b32_e64 v2, v3, v4, s4
	v_mul_f32_e32 v3, 0x37800000, v2
	v_cndmask_b32_e32 v2, v2, v3, vcc_lo
	v_cmp_class_f32_e64 vcc_lo, v1, 0x260
	v_cndmask_b32_e32 v1, v2, v1, vcc_lo
.LBB1_317:                              ;   in Loop: Header=BB1_299 Depth=2
	s_andn2_saveexec_b32 s4, s8
	s_cbranch_execz .LBB1_296
; %bb.318:                              ;   in Loop: Header=BB1_299 Depth=2
	v_mul_f32_e32 v1, v33, v76
	v_mul_f32_e32 v2, 0x3fb8aa3b, v1
	v_cmp_ngt_f32_e32 vcc_lo, 0xc2ce8ed0, v1
	v_fma_f32 v3, 0x3fb8aa3b, v1, -v2
	v_rndne_f32_e32 v4, v2
	v_fmac_f32_e32 v3, 0x32a5705f, v1
	v_sub_f32_e32 v2, v2, v4
	v_add_f32_e32 v2, v2, v3
	v_cvt_i32_f32_e32 v3, v4
	v_exp_f32_e32 v2, v2
	v_ldexp_f32 v2, v2, v3
	v_cndmask_b32_e32 v2, 0, v2, vcc_lo
	v_cmp_nlt_f32_e32 vcc_lo, 0x42b17218, v1
	v_cndmask_b32_e32 v1, 0x7f800000, v2, vcc_lo
	s_branch .LBB1_296
.LBB1_319:                              ;   in Loop: Header=BB1_19 Depth=1
	v_cndmask_b32_e64 v2, 0, 1, s4
	s_cbranch_execz .LBB1_18
	s_branch .LBB1_394
.LBB1_320:                              ;   in Loop: Header=BB1_19 Depth=1
	flat_load_ubyte v0, v[48:49] glc dlc
	s_waitcnt vmcnt(0)
	s_mov_b32 s14, exec_lo
	s_waitcnt lgkmcnt(0)
	v_add_nc_u32_e32 v1, 1, v0
	v_cmpx_lt_u32_e32 1, v0
	s_cbranch_execnz .LBB1_323
; %bb.321:                              ;   in Loop: Header=BB1_19 Depth=1
	s_or_b32 exec_lo, exec_lo, s14
	s_and_saveexec_b32 s4, s12
	s_cbranch_execnz .LBB1_324
.LBB1_322:                              ;   in Loop: Header=BB1_19 Depth=1
	s_or_b32 exec_lo, exec_lo, s4
	s_and_saveexec_b32 s5, s13
	s_cbranch_execnz .LBB1_325
	s_branch .LBB1_330
.LBB1_323:                              ;   in Loop: Header=BB1_19 Depth=1
	s_add_u32 s8, s10, 8
	s_addc_u32 s9, s11, 0
	s_getpc_b64 s[4:5]
	s_add_u32 s4, s4, _Z17MT_generate_arrayv@rel32@lo+4
	s_addc_u32 s5, s5, _Z17MT_generate_arrayv@rel32@hi+12
	s_swappc_b64 s[30:31], s[4:5]
	v_mov_b32_e32 v1, 0
	s_or_b32 exec_lo, exec_lo, s14
	s_and_saveexec_b32 s4, s12
	s_cbranch_execz .LBB1_322
.LBB1_324:                              ;   in Loop: Header=BB1_19 Depth=1
	flat_store_byte v[48:49], v1
	s_waitcnt_vscnt null, 0x0
	s_or_b32 exec_lo, exec_lo, s4
	s_and_saveexec_b32 s5, s13
	s_cbranch_execz .LBB1_330
.LBB1_325:                              ;   in Loop: Header=BB1_19 Depth=1
	v_cmp_gt_f32_e32 vcc_lo, 0xf800000, v75
	v_mul_f32_e32 v0, 0x4f800000, v75
	v_lshl_add_u32 v1, v1, 7, v67
	v_cndmask_b32_e32 v0, v75, v0, vcc_lo
	ds_read_b32 v1, v1
	v_sqrt_f32_e32 v2, v0
	v_add_nc_u32_e32 v3, -1, v2
	v_fma_f32 v4, -v3, v2, v0
	s_waitcnt lgkmcnt(0)
	v_mul_f32_e32 v1, 0x40c90fdb, v1
	v_cmp_ge_f32_e64 s4, 0, v4
	v_add_nc_u32_e32 v4, 1, v2
	v_mul_f32_e32 v1, 0.15915494, v1
	v_cndmask_b32_e64 v3, v2, v3, s4
	v_fma_f32 v2, -v4, v2, v0
	v_sin_f32_e32 v5, v1
	v_cmp_lt_f32_e64 s4, 0, v2
	v_cndmask_b32_e64 v2, v3, v4, s4
	v_mul_f32_e32 v4, v24, v24
	s_mov_b32 s4, exec_lo
	v_mul_f32_e32 v3, 0x37800000, v2
	v_fmac_f32_e32 v4, v25, v25
	v_cndmask_b32_e32 v2, v2, v3, vcc_lo
	v_cmp_class_f32_e64 vcc_lo, v0, 0x260
	v_cos_f32_e32 v3, v1
	v_cndmask_b32_e32 v2, v2, v0, vcc_lo
	v_sub_f32_e32 v0, 1.0, v61
	v_mul_f32_e32 v1, v2, v5
	v_mul_f32_e32 v5, v2, v3
	v_cmpx_ngt_f32_e32 0x1e3ce508, v4
	s_xor_b32 s6, exec_lo, s4
	s_cbranch_execz .LBB1_327
; %bb.326:                              ;   in Loop: Header=BB1_19 Depth=1
	v_cmp_gt_f32_e32 vcc_lo, 0xf800000, v4
	v_mul_f32_e32 v5, 0x4f800000, v4
	v_mul_f32_e32 v2, v2, v3
	v_cndmask_b32_e32 v4, v4, v5, vcc_lo
	v_sqrt_f32_e32 v5, v4
	v_add_nc_u32_e32 v6, -1, v5
	v_fma_f32 v7, -v6, v5, v4
	v_cmp_ge_f32_e64 s4, 0, v7
	v_add_nc_u32_e32 v7, 1, v5
	v_cndmask_b32_e64 v6, v5, v6, s4
	v_fma_f32 v5, -v7, v5, v4
	v_cmp_lt_f32_e64 s4, 0, v5
	v_cndmask_b32_e64 v5, v6, v7, s4
	v_mul_f32_e32 v6, 0x37800000, v5
	v_cndmask_b32_e32 v5, v5, v6, vcc_lo
	v_cmp_class_f32_e64 vcc_lo, v4, 0x260
	v_cndmask_b32_e32 v4, v5, v4, vcc_lo
	v_div_scale_f32 v3, null, v4, v4, v25
	v_rcp_f32_e32 v5, v3
	v_fma_f32 v6, -v3, v5, 1.0
	v_fmac_f32_e32 v5, v6, v5
	v_div_scale_f32 v6, vcc_lo, v25, v4, v25
	v_mul_f32_e32 v7, v6, v5
	v_fma_f32 v8, -v3, v7, v6
	v_fmac_f32_e32 v7, v8, v5
	v_fma_f32 v3, -v3, v7, v6
	v_div_fmas_f32 v3, v3, v5, v7
	v_div_scale_f32 v5, null, v4, v4, v24
	v_div_fixup_f32 v3, v3, v4, v25
	v_rcp_f32_e32 v6, v5
	v_fma_f32 v7, -v5, v6, 1.0
	v_fmac_f32_e32 v6, v7, v6
	v_div_scale_f32 v7, vcc_lo, v24, v4, v24
	v_mul_f32_e32 v8, v7, v6
	v_fma_f32 v9, -v5, v8, v7
	v_fmac_f32_e32 v8, v9, v6
	v_fma_f32 v5, -v5, v8, v7
	v_mul_f32_e32 v7, v3, v1
	v_mul_f32_e32 v3, v26, v3
	v_div_fmas_f32 v5, v5, v6, v8
	v_mul_f32_e32 v3, v3, v2
	v_div_fixup_f32 v5, v5, v4, v24
	v_mul_f32_e32 v6, v26, v5
	v_fmac_f32_e32 v3, v5, v1
	v_mul_f32_e32 v1, v4, v2
                                        ; implicit-def: $vgpr5
	v_fma_f32 v6, v6, v2, -v7
	v_fmac_f32_e32 v3, v25, v0
	v_fma_f32 v26, v26, v0, -v1
                                        ; implicit-def: $vgpr1
	v_fmac_f32_e32 v6, v24, v0
	v_mov_b32_e32 v25, v3
                                        ; implicit-def: $vgpr0
	v_mov_b32_e32 v24, v6
.LBB1_327:                              ;   in Loop: Header=BB1_19 Depth=1
	s_andn2_saveexec_b32 s4, s6
; %bb.328:                              ;   in Loop: Header=BB1_19 Depth=1
	v_mul_f32_e32 v26, v26, v0
	v_mov_b32_e32 v24, v5
	v_mov_b32_e32 v25, v1
; %bb.329:                              ;   in Loop: Header=BB1_19 Depth=1
	s_or_b32 exec_lo, exec_lo, s4
.LBB1_330:                              ;   in Loop: Header=BB1_19 Depth=1
	s_or_b32 exec_lo, exec_lo, s5
	v_cndmask_b32_e64 v0, 0, 1, s13
	v_cmp_ne_u32_e32 vcc_lo, 0, v0
	s_and_saveexec_b32 s4, s12
	s_cbranch_execz .LBB1_332
; %bb.331:                              ;   in Loop: Header=BB1_19 Depth=1
	s_clause 0x1
	buffer_load_dword v2, off, s[0:3], 0 offset:36
	buffer_load_dword v3, off, s[0:3], 0 offset:40
	s_bcnt1_i32_b32 s5, vcc_lo
	s_waitcnt vmcnt(0)
	flat_load_dword v1, v[2:3] glc dlc
	s_waitcnt vmcnt(0) lgkmcnt(0)
	v_add_nc_u32_e32 v1, s5, v1
	flat_store_dword v[2:3], v1
	s_waitcnt_vscnt null, 0x0
	flat_load_dword v1, v[56:57] glc dlc
	s_waitcnt vmcnt(0) lgkmcnt(0)
	v_add_nc_u32_e32 v1, 1, v1
	flat_store_dword v[56:57], v1
	s_waitcnt_vscnt null, 0x0
.LBB1_332:                              ;   in Loop: Header=BB1_19 Depth=1
	s_or_b32 exec_lo, exec_lo, s4
	v_mul_f32_e32 v1, v21, v23
	v_cndmask_b32_e64 v39, v39, 2, s13
	v_add_nc_u32_e32 v32, v32, v0
	v_cndmask_b32_e64 v21, v21, v1, s13
.LBB1_333:                              ;   in Loop: Header=BB1_19 Depth=1
	s_or_b32 s5, s95, s13
	v_cndmask_b32_e64 v0, 0, 1, s5
	v_cmp_ne_u32_e32 vcc_lo, 0, v0
	s_cmp_eq_u32 vcc_lo, exec_lo
	s_cbranch_scc1 .LBB1_392
; %bb.334:                              ;   in Loop: Header=BB1_19 Depth=1
	v_mov_b32_e32 v0, 5
	v_cmp_eq_u16_sdwa vcc_lo, v39, v0 src0_sel:BYTE_0 src1_sel:DWORD
	s_cbranch_vccz .LBB1_338
; %bb.335:                              ;   in Loop: Header=BB1_19 Depth=1
	v_cndmask_b32_e64 v0, 0, 1, vcc_lo
	v_cmp_ne_u32_e64 s4, 0, v0
	s_and_saveexec_b32 s6, s12
	s_cbranch_execz .LBB1_337
; %bb.336:                              ;   in Loop: Header=BB1_19 Depth=1
	s_clause 0x1
	buffer_load_dword v1, off, s[0:3], 0 offset:76
	buffer_load_dword v2, off, s[0:3], 0 offset:80
	s_bcnt1_i32_b32 s4, s4
	s_waitcnt vmcnt(0)
	flat_load_dword v0, v[1:2] glc dlc
	s_waitcnt vmcnt(0) lgkmcnt(0)
	v_add_nc_u32_e32 v0, s4, v0
	flat_store_dword v[1:2], v0
	s_waitcnt_vscnt null, 0x0
	flat_load_dword v0, v[56:57] glc dlc
	s_waitcnt vmcnt(0) lgkmcnt(0)
	v_add_nc_u32_e32 v0, 1, v0
	flat_store_dword v[56:57], v0
	s_waitcnt_vscnt null, 0x0
.LBB1_337:                              ;   in Loop: Header=BB1_19 Depth=1
	s_or_b32 exec_lo, exec_lo, s6
	v_cndmask_b32_e64 v39, v39, 8, vcc_lo
.LBB1_338:                              ;   in Loop: Header=BB1_19 Depth=1
	s_or_b32 s14, s5, vcc_lo
	v_cndmask_b32_e64 v0, 0, 1, s14
	v_cmp_ne_u32_e64 s4, 0, v0
	s_cmp_eq_u32 s4, exec_lo
	s_cbranch_scc1 .LBB1_395
; %bb.339:                              ;   in Loop: Header=BB1_19 Depth=1
	v_mov_b32_e32 v0, 3
	v_cmp_eq_u16_sdwa s13, v39, v0 src0_sel:BYTE_0 src1_sel:DWORD
	v_cmp_ne_u16_sdwa s4, v39, v0 src0_sel:BYTE_0 src1_sel:DWORD
	s_mov_b32 vcc_lo, s13
	s_cbranch_vccz .LBB1_381
; %bb.340:                              ;   in Loop: Header=BB1_19 Depth=1
                                        ; implicit-def: $vgpr0
	s_and_saveexec_b32 s5, s13
	s_cbranch_execz .LBB1_342
; %bb.341:                              ;   in Loop: Header=BB1_19 Depth=1
	v_mov_b32_e32 v61, v47
	v_add_nc_u32_e32 v32, 0x10000, v32
	v_mov_b32_e32 v39, 2
	v_lshlrev_b64 v[0:1], 4, v[60:61]
	v_add_co_u32 v0, vcc_lo, s64, v0
	v_add_co_ci_u32_e64 v1, null, s65, v1, vcc_lo
	global_load_ushort v0, v[0:1], off
.LBB1_342:                              ;   in Loop: Header=BB1_19 Depth=1
	s_or_b32 exec_lo, exec_lo, s5
	s_waitcnt vmcnt(0)
	v_and_b32_e32 v0, 0xffff, v0
	s_and_saveexec_b32 s5, s4
	s_xor_b32 s4, exec_lo, s5
	s_or_saveexec_b32 s5, s4
	v_mov_b32_e32 v29, 0
	v_mov_b32_e32 v27, 0
	;; [unrolled: 1-line block ×3, first 2 shown]
	s_xor_b32 exec_lo, exec_lo, s5
	s_cbranch_execz .LBB1_344
; %bb.343:                              ;   in Loop: Header=BB1_19 Depth=1
	v_cmp_gt_f32_e32 vcc_lo, 0x800000, v21
	v_cndmask_b32_e64 v1, 0, 32, vcc_lo
	v_ldexp_f32 v1, v21, v1
	v_log_f32_e32 v1, v1
	v_mul_f32_e32 v2, 0x3f317217, v1
	v_cmp_gt_f32_e64 s4, 0x7f800000, |v1|
	v_fma_f32 v2, 0x3f317217, v1, -v2
	v_fmac_f32_e32 v2, 0x3377d1cf, v1
	v_fmac_f32_e32 v2, 0x3f317217, v1
	v_cndmask_b32_e64 v1, v1, v2, s4
	v_cndmask_b32_e64 v2, 0, 0x41b17218, vcc_lo
	v_sub_f32_e32 v3, v1, v2
	v_lshlrev_b32_e32 v1, 3, v0
	global_load_dwordx2 v[1:2], v1, s[66:67]
	s_waitcnt vmcnt(0)
	v_fmac_f32_e32 v1, v3, v2
	v_cvt_i32_f32_e32 v1, v1
	v_mad_u32_u24 v1, 0xc8, v0, v1
	v_ashrrev_i32_e32 v2, 31, v1
	v_lshlrev_b64 v[1:2], 3, v[1:2]
	v_add_co_u32 v1, vcc_lo, s80, v1
	v_add_co_ci_u32_e64 v2, null, s81, v2, vcc_lo
	global_load_dwordx2 v[27:28], v[1:2], off
	s_waitcnt vmcnt(0)
	v_fmac_f32_e32 v27, v3, v28
	v_mul_f32_e32 v28, 0x42a14f65, v21
.LBB1_344:                              ;   in Loop: Header=BB1_19 Depth=1
	s_or_b32 exec_lo, exec_lo, s5
	v_mul_u32_u24_e32 v33, 0x64, v0
	v_mad_u32_u24 v38, 0x64, v0, -1
	v_mov_b32_e32 v23, 0
	v_mov_b32_e32 v46, 0
	s_xor_b32 s96, s13, -1
	s_branch .LBB1_347
.LBB1_345:                              ;   in Loop: Header=BB1_347 Depth=2
	s_or_b32 exec_lo, exec_lo, s6
	v_mul_f32_e32 v29, v23, v23
	s_orn2_b32 s96, s5, exec_lo
.LBB1_346:                              ;   in Loop: Header=BB1_347 Depth=2
	s_or_b32 exec_lo, exec_lo, s4
	v_cndmask_b32_e64 v0, 0, 1, s96
	v_cmp_ne_u32_e32 vcc_lo, 0, v0
	s_cmp_lg_u32 vcc_lo, exec_lo
	s_cbranch_scc0 .LBB1_368
.LBB1_347:                              ;   Parent Loop BB1_19 Depth=1
                                        ; =>  This Loop Header: Depth=2
                                        ;       Child Loop BB1_350 Depth 3
                                        ;         Child Loop BB1_359 Depth 4
	s_xor_b32 s95, s96, -1
	s_branch .LBB1_350
.LBB1_348:                              ;   in Loop: Header=BB1_350 Depth=3
	s_or_b32 exec_lo, exec_lo, s6
	v_lshlrev_b64 v[0:1], 4, v[0:1]
	v_add_co_u32 v0, vcc_lo, s84, v0
	v_add_co_ci_u32_e64 v1, null, s85, v1, vcc_lo
	global_load_dwordx4 v[0:3], v[0:1], off
	s_waitcnt vmcnt(0)
	v_sub_f32_e32 v1, v4, v1
	v_fma_f32 v1, v1, v3, 1.0
	v_cmp_gt_f32_e32 vcc_lo, 0x800000, v1
	v_cndmask_b32_e64 v3, 0, 32, vcc_lo
	v_cndmask_b32_e64 v4, 0, 0x41b17218, vcc_lo
	v_ldexp_f32 v1, v1, v3
	v_log_f32_e32 v1, v1
	v_mul_f32_e32 v3, 0x3f317217, v1
	v_cmp_gt_f32_e64 vcc_lo, 0x7f800000, |v1|
	v_fma_f32 v3, 0x3f317217, v1, -v3
	v_fmac_f32_e32 v3, 0x3377d1cf, v1
	v_fmac_f32_e32 v3, 0x3f317217, v1
	v_cndmask_b32_e32 v1, v1, v3, vcc_lo
	v_sub_f32_e32 v1, v1, v4
	v_mul_f32_e32 v1, v2, v1
	v_mul_f32_e32 v2, 0x3fb8aa3b, v1
	v_cmp_ngt_f32_e32 vcc_lo, 0xc2ce8ed0, v1
	v_fma_f32 v3, 0x3fb8aa3b, v1, -v2
	v_rndne_f32_e32 v4, v2
	v_fmac_f32_e32 v3, 0x32a5705f, v1
	v_sub_f32_e32 v2, v2, v4
	v_add_f32_e32 v2, v2, v3
	v_cvt_i32_f32_e32 v3, v4
	v_exp_f32_e32 v2, v2
	v_ldexp_f32 v2, v2, v3
	v_cndmask_b32_e32 v2, 0, v2, vcc_lo
	v_cmp_nlt_f32_e32 vcc_lo, 0x42b17218, v1
	v_cndmask_b32_e32 v1, 0x7f800000, v2, vcc_lo
	v_mul_f32_e32 v46, v0, v1
	v_cmp_lt_f32_e32 vcc_lo, v46, v28
	s_orn2_b32 s96, vcc_lo, exec_lo
.LBB1_349:                              ;   in Loop: Header=BB1_350 Depth=3
	s_or_b32 exec_lo, exec_lo, s5
	v_cndmask_b32_e64 v0, 0, 1, s96
	v_cmp_ne_u32_e32 vcc_lo, 0, v0
	s_cmp_lg_u32 vcc_lo, exec_lo
	s_cbranch_scc0 .LBB1_361
.LBB1_350:                              ;   Parent Loop BB1_19 Depth=1
                                        ;     Parent Loop BB1_347 Depth=2
                                        ; =>    This Loop Header: Depth=3
                                        ;         Child Loop BB1_359 Depth 4
	flat_load_ubyte v0, v[48:49] glc dlc
	s_waitcnt vmcnt(0) lgkmcnt(0)
	v_cmp_lt_u32_e32 vcc_lo, 1, v0
	v_add_nc_u32_e32 v0, 1, v0
	s_and_saveexec_b32 s97, vcc_lo
	s_cbranch_execz .LBB1_352
; %bb.351:                              ;   in Loop: Header=BB1_350 Depth=3
	s_add_u32 s8, s10, 8
	s_addc_u32 s9, s11, 0
	s_getpc_b64 s[4:5]
	s_add_u32 s4, s4, _Z17MT_generate_arrayv@rel32@lo+4
	s_addc_u32 s5, s5, _Z17MT_generate_arrayv@rel32@hi+12
	s_swappc_b64 s[30:31], s[4:5]
	v_mov_b32_e32 v0, 0
.LBB1_352:                              ;   in Loop: Header=BB1_350 Depth=3
	s_or_b32 exec_lo, exec_lo, s97
	s_and_saveexec_b32 s4, s12
	s_cbranch_execz .LBB1_354
; %bb.353:                              ;   in Loop: Header=BB1_350 Depth=3
	flat_store_byte v[48:49], v0
	s_waitcnt_vscnt null, 0x0
.LBB1_354:                              ;   in Loop: Header=BB1_350 Depth=3
	s_or_b32 exec_lo, exec_lo, s4
	s_xor_b32 s4, s96, -1
	s_mov_b32 s96, -1
	s_and_saveexec_b32 s5, s4
	s_cbranch_execz .LBB1_349
; %bb.355:                              ;   in Loop: Header=BB1_350 Depth=3
	v_lshl_add_u32 v0, v0, 7, v67
	ds_read_b32 v0, v0
	s_waitcnt lgkmcnt(0)
	v_mul_f32_e32 v4, v27, v0
	v_mul_f32_e32 v0, 0x42c60000, v4
	v_cvt_i32_f32_e32 v0, v0
	v_add_nc_u32_e32 v0, v33, v0
	v_ashrrev_i32_e32 v1, 31, v0
	v_lshlrev_b64 v[0:1], 2, v[0:1]
	v_add_co_u32 v0, vcc_lo, s82, v0
	v_add_co_ci_u32_e64 v1, null, s83, v1, vcc_lo
	global_load_dwordx2 v[2:3], v[0:1], off
	s_waitcnt vmcnt(0)
	v_add_nc_u32_e32 v5, -1, v2
	v_add_nc_u32_e32 v0, -1, v3
	v_cmp_le_i32_e32 vcc_lo, v0, v5
                                        ; implicit-def: $vgpr0_vgpr1
	s_and_saveexec_b32 s4, vcc_lo
	s_xor_b32 s4, exec_lo, s4
; %bb.356:                              ;   in Loop: Header=BB1_350 Depth=3
	v_add_nc_u32_e32 v0, v5, v33
                                        ; implicit-def: $vgpr5
                                        ; implicit-def: $vgpr2_vgpr3
	v_ashrrev_i32_e32 v1, 31, v0
; %bb.357:                              ;   in Loop: Header=BB1_350 Depth=3
	s_andn2_saveexec_b32 s6, s4
	s_cbranch_execz .LBB1_348
; %bb.358:                              ;   in Loop: Header=BB1_350 Depth=3
	v_add_nc_u32_e32 v0, v38, v2
	s_mov_b32 s7, 0
	v_ashrrev_i32_e32 v1, 31, v0
	v_lshlrev_b64 v[2:3], 4, v[0:1]
	v_add_co_u32 v0, vcc_lo, v0, -1
	v_add_co_ci_u32_e64 v1, null, -1, v1, vcc_lo
	v_add_co_u32 v2, vcc_lo, s51, v2
	v_add_co_ci_u32_e64 v3, null, s94, v3, vcc_lo
	.p2align	6
.LBB1_359:                              ;   Parent Loop BB1_19 Depth=1
                                        ;     Parent Loop BB1_347 Depth=2
                                        ;       Parent Loop BB1_350 Depth=3
                                        ; =>      This Inner Loop Header: Depth=4
	global_load_dword v6, v[2:3], off
	v_cmp_lt_i32_e64 s4, 0x61, v5
	v_add_nc_u32_e32 v5, 1, v5
	s_waitcnt vmcnt(0)
	v_cmp_lt_f32_e32 vcc_lo, v4, v6
	s_or_b32 s4, s4, vcc_lo
	v_add_co_u32 v0, vcc_lo, v0, 1
	v_add_co_ci_u32_e64 v1, null, 0, v1, vcc_lo
	v_add_co_u32 v2, vcc_lo, v2, 16
	v_add_co_ci_u32_e64 v3, null, 0, v3, vcc_lo
	s_and_b32 s4, exec_lo, s4
	s_or_b32 s7, s4, s7
	s_andn2_b32 exec_lo, exec_lo, s7
	s_cbranch_execnz .LBB1_359
; %bb.360:                              ;   in Loop: Header=BB1_350 Depth=3
	s_or_b32 exec_lo, exec_lo, s7
	s_branch .LBB1_348
.LBB1_361:                              ;   in Loop: Header=BB1_347 Depth=2
	flat_load_ubyte v0, v[48:49] glc dlc
	s_waitcnt vmcnt(0) lgkmcnt(0)
	v_cmp_lt_u32_e32 vcc_lo, 1, v0
	v_add_nc_u32_e32 v0, 1, v0
	s_and_saveexec_b32 s96, vcc_lo
	s_cbranch_execnz .LBB1_364
; %bb.362:                              ;   in Loop: Header=BB1_347 Depth=2
	s_or_b32 exec_lo, exec_lo, s96
	s_and_saveexec_b32 s4, s12
	s_cbranch_execnz .LBB1_365
.LBB1_363:                              ;   in Loop: Header=BB1_347 Depth=2
	s_or_b32 exec_lo, exec_lo, s4
	s_mov_b32 s96, -1
	s_and_saveexec_b32 s4, s95
	s_cbranch_execz .LBB1_346
	s_branch .LBB1_366
.LBB1_364:                              ;   in Loop: Header=BB1_347 Depth=2
	s_add_u32 s8, s10, 8
	s_addc_u32 s9, s11, 0
	s_getpc_b64 s[4:5]
	s_add_u32 s4, s4, _Z17MT_generate_arrayv@rel32@lo+4
	s_addc_u32 s5, s5, _Z17MT_generate_arrayv@rel32@hi+12
	s_swappc_b64 s[30:31], s[4:5]
	v_mov_b32_e32 v0, 0
	s_or_b32 exec_lo, exec_lo, s96
	s_and_saveexec_b32 s4, s12
	s_cbranch_execz .LBB1_363
.LBB1_365:                              ;   in Loop: Header=BB1_347 Depth=2
	flat_store_byte v[48:49], v0
	s_waitcnt_vscnt null, 0x0
	s_or_b32 exec_lo, exec_lo, s4
	s_mov_b32 s96, -1
	s_and_saveexec_b32 s4, s95
	s_cbranch_execz .LBB1_346
.LBB1_366:                              ;   in Loop: Header=BB1_347 Depth=2
	v_div_scale_f32 v1, null, v21, v21, v46
	v_lshl_add_u32 v0, v0, 7, v67
	s_mov_b32 s5, 0
	s_mov_b32 s6, exec_lo
	v_rcp_f32_e32 v2, v1
	ds_read_b32 v0, v0
	v_fma_f32 v3, -v1, v2, 1.0
	v_fmac_f32_e32 v2, v3, v2
	v_div_scale_f32 v3, vcc_lo, v46, v21, v46
	v_mul_f32_e32 v4, v3, v2
	s_waitcnt lgkmcnt(0)
	v_add_f32_e32 v0, v0, v0
	v_fma_f32 v5, -v1, v4, v3
	v_fmac_f32_e32 v4, v5, v2
	v_fma_f32 v1, -v1, v4, v3
	v_div_fmas_f32 v1, v1, v2, v4
	v_div_fixup_f32 v46, v1, v21, v46
	v_mul_f32_e32 v1, 0xb9a1307f, v46
	v_fma_f32 v23, v46, v1, 1.0
	v_fma_f32 v1, v23, v23, 1.0
	v_cmpx_lt_f32_e32 v0, v1
	s_cbranch_execz .LBB1_345
; %bb.367:                              ;   in Loop: Header=BB1_347 Depth=2
	s_mov_b32 s5, exec_lo
	s_branch .LBB1_345
.LBB1_368:                              ;   in Loop: Header=BB1_19 Depth=1
	flat_load_ubyte v0, v[48:49] glc dlc
	s_waitcnt vmcnt(0) lgkmcnt(0)
	v_cmp_lt_u32_e32 vcc_lo, 1, v0
	v_add_nc_u32_e32 v0, 1, v0
	s_and_saveexec_b32 s95, vcc_lo
	s_cbranch_execnz .LBB1_371
; %bb.369:                              ;   in Loop: Header=BB1_19 Depth=1
	s_or_b32 exec_lo, exec_lo, s95
	s_and_saveexec_b32 s4, s12
	s_cbranch_execnz .LBB1_372
.LBB1_370:                              ;   in Loop: Header=BB1_19 Depth=1
	s_or_b32 exec_lo, exec_lo, s4
	s_and_saveexec_b32 s5, s13
	s_cbranch_execnz .LBB1_373
	s_branch .LBB1_378
.LBB1_371:                              ;   in Loop: Header=BB1_19 Depth=1
	s_add_u32 s8, s10, 8
	s_addc_u32 s9, s11, 0
	s_getpc_b64 s[4:5]
	s_add_u32 s4, s4, _Z17MT_generate_arrayv@rel32@lo+4
	s_addc_u32 s5, s5, _Z17MT_generate_arrayv@rel32@hi+12
	s_swappc_b64 s[30:31], s[4:5]
	v_mov_b32_e32 v0, 0
	s_or_b32 exec_lo, exec_lo, s95
	s_and_saveexec_b32 s4, s12
	s_cbranch_execz .LBB1_370
.LBB1_372:                              ;   in Loop: Header=BB1_19 Depth=1
	flat_store_byte v[48:49], v0
	s_waitcnt_vscnt null, 0x0
	s_or_b32 exec_lo, exec_lo, s4
	s_and_saveexec_b32 s5, s13
	s_cbranch_execz .LBB1_378
.LBB1_373:                              ;   in Loop: Header=BB1_19 Depth=1
	v_sub_f32_e32 v1, 1.0, v29
	v_lshl_add_u32 v0, v0, 7, v67
	v_cmp_gt_f32_e32 vcc_lo, 0xf800000, v1
	v_mul_f32_e32 v2, 0x4f800000, v1
	ds_read_b32 v0, v0
	v_cndmask_b32_e32 v1, v1, v2, vcc_lo
	v_sqrt_f32_e32 v2, v1
	v_add_nc_u32_e32 v3, -1, v2
	s_waitcnt lgkmcnt(0)
	v_mul_f32_e32 v0, 0x40c90fdb, v0
	v_fma_f32 v4, -v3, v2, v1
	v_mul_f32_e32 v0, 0.15915494, v0
	v_cmp_ge_f32_e64 s4, 0, v4
	v_add_nc_u32_e32 v4, 1, v2
	v_cndmask_b32_e64 v3, v2, v3, s4
	v_fma_f32 v2, -v4, v2, v1
	v_cmp_lt_f32_e64 s4, 0, v2
	v_cndmask_b32_e64 v2, v3, v4, s4
	v_sin_f32_e32 v4, v0
	s_mov_b32 s4, exec_lo
	v_mul_f32_e32 v3, 0x37800000, v2
	v_cndmask_b32_e32 v2, v2, v3, vcc_lo
	v_cmp_class_f32_e64 vcc_lo, v1, 0x260
	v_mul_f32_e32 v3, v24, v24
	v_cndmask_b32_e32 v1, v2, v1, vcc_lo
	v_cos_f32_e32 v2, v0
	v_fmac_f32_e32 v3, v25, v25
	v_mul_f32_e32 v0, v1, v4
	v_mul_f32_e32 v4, v1, v2
	v_cmpx_ngt_f32_e32 0x1e3ce508, v3
	s_xor_b32 s6, exec_lo, s4
	s_cbranch_execz .LBB1_375
; %bb.374:                              ;   in Loop: Header=BB1_19 Depth=1
	v_cmp_gt_f32_e32 vcc_lo, 0xf800000, v3
	v_mul_f32_e32 v4, 0x4f800000, v3
	v_mul_f32_e32 v1, v1, v2
	v_cndmask_b32_e32 v3, v3, v4, vcc_lo
	v_sqrt_f32_e32 v4, v3
	v_add_nc_u32_e32 v5, -1, v4
	v_fma_f32 v6, -v5, v4, v3
	v_cmp_ge_f32_e64 s4, 0, v6
	v_add_nc_u32_e32 v6, 1, v4
	v_cndmask_b32_e64 v5, v4, v5, s4
	v_fma_f32 v4, -v6, v4, v3
	v_cmp_lt_f32_e64 s4, 0, v4
	v_cndmask_b32_e64 v4, v5, v6, s4
	v_mul_f32_e32 v5, 0x37800000, v4
	v_cndmask_b32_e32 v4, v4, v5, vcc_lo
	v_cmp_class_f32_e64 vcc_lo, v3, 0x260
	v_cndmask_b32_e32 v3, v4, v3, vcc_lo
	v_div_scale_f32 v2, null, v3, v3, v25
	v_rcp_f32_e32 v4, v2
	v_fma_f32 v5, -v2, v4, 1.0
	v_fmac_f32_e32 v4, v5, v4
	v_div_scale_f32 v5, vcc_lo, v25, v3, v25
	v_mul_f32_e32 v6, v5, v4
	v_fma_f32 v7, -v2, v6, v5
	v_fmac_f32_e32 v6, v7, v4
	v_fma_f32 v2, -v2, v6, v5
	v_div_fmas_f32 v2, v2, v4, v6
	v_div_scale_f32 v4, null, v3, v3, v24
	v_div_fixup_f32 v2, v2, v3, v25
	v_rcp_f32_e32 v5, v4
	v_fma_f32 v6, -v4, v5, 1.0
	v_fmac_f32_e32 v5, v6, v5
	v_div_scale_f32 v6, vcc_lo, v24, v3, v24
	v_mul_f32_e32 v7, v6, v5
	v_fma_f32 v8, -v4, v7, v6
	v_fmac_f32_e32 v7, v8, v5
	v_fma_f32 v4, -v4, v7, v6
	v_mul_f32_e32 v6, v2, v0
	v_mul_f32_e32 v2, v26, v2
	v_div_fmas_f32 v4, v4, v5, v7
	v_mul_f32_e32 v2, v2, v1
	v_div_fixup_f32 v4, v4, v3, v24
	v_mul_f32_e32 v5, v26, v4
	v_fmac_f32_e32 v2, v4, v0
	v_mul_f32_e32 v0, v3, v1
                                        ; implicit-def: $vgpr4
	v_fma_f32 v5, v5, v1, -v6
	v_fmac_f32_e32 v2, v25, v23
	v_fma_f32 v26, v26, v23, -v0
                                        ; implicit-def: $vgpr0
	v_fmac_f32_e32 v5, v24, v23
	v_mov_b32_e32 v25, v2
	v_mov_b32_e32 v24, v5
.LBB1_375:                              ;   in Loop: Header=BB1_19 Depth=1
	s_andn2_saveexec_b32 s4, s6
; %bb.376:                              ;   in Loop: Header=BB1_19 Depth=1
	v_mul_f32_e32 v26, v26, v23
	v_mov_b32_e32 v24, v4
	v_mov_b32_e32 v25, v0
; %bb.377:                              ;   in Loop: Header=BB1_19 Depth=1
	s_or_b32 exec_lo, exec_lo, s4
.LBB1_378:                              ;   in Loop: Header=BB1_19 Depth=1
	s_or_b32 exec_lo, exec_lo, s5
	v_cndmask_b32_e64 v0, 0, 1, s13
	v_cmp_ne_u32_e32 vcc_lo, 0, v0
	s_and_saveexec_b32 s4, s12
	s_cbranch_execz .LBB1_380
; %bb.379:                              ;   in Loop: Header=BB1_19 Depth=1
	s_clause 0x1
	buffer_load_dword v1, off, s[0:3], 0 offset:84
	buffer_load_dword v2, off, s[0:3], 0 offset:88
	s_bcnt1_i32_b32 s5, vcc_lo
	s_waitcnt vmcnt(0)
	flat_load_dword v0, v[1:2] glc dlc
	s_waitcnt vmcnt(0) lgkmcnt(0)
	v_add_nc_u32_e32 v0, s5, v0
	flat_store_dword v[1:2], v0
	s_waitcnt_vscnt null, 0x0
	flat_load_dword v0, v[56:57] glc dlc
	s_waitcnt vmcnt(0) lgkmcnt(0)
	v_add_nc_u32_e32 v0, 1, v0
	flat_store_dword v[56:57], v0
	s_waitcnt_vscnt null, 0x0
.LBB1_380:                              ;   in Loop: Header=BB1_19 Depth=1
	s_or_b32 exec_lo, exec_lo, s4
.LBB1_381:                              ;   in Loop: Header=BB1_19 Depth=1
	s_or_b32 s5, s14, s13
	v_cndmask_b32_e64 v0, 0, 1, s5
	v_cmp_ne_u32_e32 vcc_lo, 0, v0
	s_cmp_eq_u32 vcc_lo, exec_lo
	s_cbranch_scc1 .LBB1_392
; %bb.382:                              ;   in Loop: Header=BB1_19 Depth=1
	v_mov_b32_e32 v0, 6
	v_cmp_eq_u16_sdwa vcc_lo, v39, v0 src0_sel:BYTE_0 src1_sel:DWORD
	s_cbranch_vccz .LBB1_386
; %bb.383:                              ;   in Loop: Header=BB1_19 Depth=1
	v_cndmask_b32_e64 v0, 0, 1, vcc_lo
	v_cmp_ne_u32_e64 s4, 0, v0
	s_and_saveexec_b32 s6, s12
	s_cbranch_execz .LBB1_385
; %bb.384:                              ;   in Loop: Header=BB1_19 Depth=1
	s_clause 0x1
	buffer_load_dword v1, off, s[0:3], 0 offset:92
	buffer_load_dword v2, off, s[0:3], 0 offset:96
	s_bcnt1_i32_b32 s4, s4
	s_waitcnt vmcnt(0)
	flat_load_dword v0, v[1:2] glc dlc
	s_waitcnt vmcnt(0) lgkmcnt(0)
	v_add_nc_u32_e32 v0, s4, v0
	flat_store_dword v[1:2], v0
	s_waitcnt_vscnt null, 0x0
	flat_load_dword v0, v[56:57] glc dlc
	s_waitcnt vmcnt(0) lgkmcnt(0)
	v_add_nc_u32_e32 v0, 1, v0
	flat_store_dword v[56:57], v0
	s_waitcnt_vscnt null, 0x0
.LBB1_385:                              ;   in Loop: Header=BB1_19 Depth=1
	s_or_b32 exec_lo, exec_lo, s6
	v_cndmask_b32_e64 v39, v39, 8, vcc_lo
.LBB1_386:                              ;   in Loop: Header=BB1_19 Depth=1
	s_or_b32 s5, s5, vcc_lo
	v_cndmask_b32_e64 v0, 0, 1, s5
	v_cmp_ne_u32_e64 s4, 0, v0
	s_cmp_eq_u32 s4, exec_lo
	s_cbranch_scc1 .LBB1_395
; %bb.387:                              ;   in Loop: Header=BB1_19 Depth=1
	v_cmp_eq_u16_sdwa vcc_lo, v39, v47 src0_sel:BYTE_0 src1_sel:DWORD
	v_cndmask_b32_e64 v2, 0, 1, vcc_lo
	s_cbranch_vccz .LBB1_391
; %bb.388:                              ;   in Loop: Header=BB1_19 Depth=1
	v_cndmask_b32_e64 v0, 0, 1, vcc_lo
	v_cmp_ne_u32_e64 s4, 0, v0
	s_and_saveexec_b32 s6, s12
	s_cbranch_execz .LBB1_390
; %bb.389:                              ;   in Loop: Header=BB1_19 Depth=1
	flat_load_dword v0, v[42:43] glc dlc
	s_waitcnt vmcnt(0)
	s_bcnt1_i32_b32 s4, s4
	s_waitcnt lgkmcnt(0)
	v_add_nc_u32_e32 v0, s4, v0
	flat_store_dword v[42:43], v0
	s_waitcnt_vscnt null, 0x0
	flat_load_dword v0, v[56:57] glc dlc
	s_waitcnt vmcnt(0) lgkmcnt(0)
	v_add_nc_u32_e32 v0, 1, v0
	flat_store_dword v[56:57], v0
	s_waitcnt_vscnt null, 0x0
.LBB1_390:                              ;   in Loop: Header=BB1_19 Depth=1
	s_or_b32 exec_lo, exec_lo, s6
	v_cndmask_b32_e64 v39, v39, 8, vcc_lo
.LBB1_391:                              ;   in Loop: Header=BB1_19 Depth=1
	s_nor_b32 s4, s5, vcc_lo
	v_cndmask_b32_e64 v0, 0, 1, s4
	v_cmp_ne_u32_e32 vcc_lo, 0, v0
	s_cmp_lg_u32 vcc_lo, exec_lo
	s_cselect_b32 s4, -1, 0
	s_xor_b32 s5, s33, -1
	s_or_b32 s4, s5, s4
	s_and_b32 vcc_lo, exec_lo, s4
	s_cbranch_vccz .LBB1_18
	s_branch .LBB1_394
.LBB1_392:                              ;   in Loop: Header=BB1_19 Depth=1
	v_cndmask_b32_e64 v2, 0, 1, s13
.LBB1_393:                              ;   in Loop: Header=BB1_19 Depth=1
	s_cbranch_execz .LBB1_18
.LBB1_394:                              ;   in Loop: Header=BB1_19 Depth=1
	s_add_i32 s15, s15, 1
	s_cmpk_eq_u32 s15, 0x8000
	s_cselect_b32 s47, -1, 0
	s_branch .LBB1_18
.LBB1_395:                              ;   in Loop: Header=BB1_19 Depth=1
	v_cndmask_b32_e64 v2, 0, 1, vcc_lo
	s_cbranch_execz .LBB1_18
	s_branch .LBB1_394
.LBB1_396:
	s_mov_b32 s4, exec_lo
	s_waitcnt vmcnt(0) lgkmcnt(0)
	s_waitcnt_vscnt null, 0x0
	s_barrier
	buffer_gl0_inv
	v_cmpx_gt_u32_e32 9, v31
	s_cbranch_execz .LBB1_398
; %bb.397:
	v_lshlrev_b32_e32 v0, 2, v31
	s_getpc_b64 s[6:7]
	s_add_u32 s6, s6, total_step_counts@rel32@lo+4
	s_addc_u32 s7, s7, total_step_counts@rel32@hi+12
	s_mul_i32 s5, s28, 0x48
	s_load_dwordx2 s[6:7], s[6:7], 0x0
	s_mul_hi_u32 s8, s28, 0x48
	v_add_nc_u32_e32 v11, 0x4000, v0
	ds_read2_b32 v[0:1], v11 offset0:80 offset1:89
	ds_read2_b32 v[3:4], v11 offset0:98 offset1:107
	;; [unrolled: 1-line block ×5, first 2 shown]
	s_waitcnt lgkmcnt(0)
	s_add_u32 s6, s6, s5
	s_addc_u32 s7, s7, s8
	v_add_nc_u32_e32 v12, v1, v0
	ds_read2_b32 v[0:1], v11 offset0:170 offset1:179
	v_add3_u32 v12, v3, v12, v4
	ds_read2_b32 v[3:4], v11 offset0:188 offset1:197
	v_add3_u32 v12, v5, v12, v6
	;; [unrolled: 2-line block ×3, first 2 shown]
	v_add3_u32 v7, v9, v7, v10
	s_waitcnt lgkmcnt(2)
	v_add3_u32 v0, v0, v7, v1
	v_mov_b32_e32 v1, 0
	s_waitcnt lgkmcnt(1)
	v_add3_u32 v0, v3, v0, v4
	v_lshlrev_b32_e32 v3, 3, v31
	s_waitcnt lgkmcnt(0)
	v_add3_u32 v0, v5, v0, v6
	global_store_dwordx2 v3, v[0:1], s[6:7]
.LBB1_398:
	s_or_b32 exec_lo, exec_lo, s4
	s_mov_b32 s4, exec_lo
	v_cmpx_eq_u32_e32 0, v31
	s_cbranch_execz .LBB1_402
; %bb.399:
	s_mov_b64 s[6:7], src_shared_base
	v_mov_b32_e32 v0, 0x4480
	v_mov_b32_e32 v1, s7
	s_mov_b32 s5, exec_lo
	flat_load_dwordx2 v[3:4], v[0:1] glc dlc
	s_waitcnt vmcnt(0)
	v_mov_b32_e32 v0, 0x4488
	flat_load_dwordx2 v[5:6], v[0:1] glc dlc
	s_waitcnt vmcnt(0)
	v_mov_b32_e32 v0, 0x4490
	;; [unrolled: 3-line block ×15, first 2 shown]
	flat_load_dwordx2 v[0:1], v[0:1] glc dlc
	s_waitcnt vmcnt(0) lgkmcnt(15)
	v_add_f64 v[3:4], v[3:4], 0
	s_waitcnt lgkmcnt(14)
	v_add_f64 v[3:4], v[3:4], v[5:6]
	s_waitcnt lgkmcnt(13)
	;; [unrolled: 2-line block ×15, first 2 shown]
	v_add_f64 v[0:1], v[3:4], v[0:1]
	v_cmpx_lt_f64_e32 0, v[0:1]
	s_cbranch_execz .LBB1_401
; %bb.400:
	s_getpc_b64 s[6:7]
	s_add_u32 s6, s6, total_weights@rel32@lo+4
	s_addc_u32 s7, s7, total_weights@rel32@hi+12
	s_lshl_b64 s[8:9], s[28:29], 3
	s_load_dwordx2 s[6:7], s[6:7], 0x0
	v_mov_b32_e32 v5, 0
	s_waitcnt lgkmcnt(0)
	s_add_u32 s6, s6, s8
	s_addc_u32 s7, s7, s9
	global_load_dwordx2 v[3:4], v5, s[6:7]
	s_waitcnt vmcnt(0)
	v_add_f64 v[0:1], v[0:1], v[3:4]
	global_store_dwordx2 v5, v[0:1], s[6:7]
.LBB1_401:
	s_or_b32 exec_lo, exec_lo, s5
	s_mov_b64 s[6:7], src_shared_base
	v_mov_b32_e32 v0, 0x4500
	v_mov_b32_e32 v1, s7
	s_getpc_b64 s[6:7]
	s_add_u32 s6, s6, total_list_depth@rel32@lo+4
	s_addc_u32 s7, s7, total_list_depth@rel32@hi+12
	s_lshl_b64 s[8:9], s[28:29], 3
	s_load_dwordx2 s[6:7], s[6:7], 0x0
	flat_load_dword v3, v[0:1] glc dlc
	s_waitcnt vmcnt(0)
	v_mov_b32_e32 v0, 0x4540
	flat_load_dword v4, v[0:1] glc dlc
	s_waitcnt vmcnt(0)
	v_mov_b32_e32 v0, 0x4504
	;; [unrolled: 3-line block ×4, first 2 shown]
	s_waitcnt lgkmcnt(0)
	s_add_u32 s6, s6, s8
	s_addc_u32 s7, s7, s9
	s_getpc_b64 s[10:11]
	s_add_u32 s10, s10, total_num_inner_iterations@rel32@lo+4
	s_addc_u32 s11, s11, total_num_inner_iterations@rel32@hi+12
	flat_load_dword v7, v[0:1] glc dlc
	s_waitcnt vmcnt(0)
	v_mov_b32_e32 v0, 0x4548
	s_load_dwordx2 s[10:11], s[10:11], 0x0
	flat_load_dword v8, v[0:1] glc dlc
	s_waitcnt vmcnt(0)
	v_mov_b32_e32 v0, 0x450c
	flat_load_dword v9, v[0:1] glc dlc
	s_waitcnt vmcnt(0)
	v_mov_b32_e32 v0, 0x454c
	;; [unrolled: 3-line block ×3, first 2 shown]
	s_waitcnt lgkmcnt(0)
	s_add_u32 s8, s10, s8
	s_addc_u32 s9, s11, s9
	flat_load_dword v11, v[0:1] glc dlc
	s_waitcnt vmcnt(0)
	v_mov_b32_e32 v0, 0x4550
	flat_load_dword v12, v[0:1] glc dlc
	s_waitcnt vmcnt(0)
	v_mov_b32_e32 v0, 0x4514
	;; [unrolled: 3-line block ×23, first 2 shown]
	flat_load_dword v47, v[0:1] glc dlc
	s_waitcnt vmcnt(0)
	v_add_nc_u32_e32 v0, v5, v3
	v_add_nc_u32_e32 v1, v6, v4
	v_add3_u32 v0, v7, v0, v9
	v_add3_u32 v1, v8, v1, v10
	s_waitcnt lgkmcnt(21)
	v_add3_u32 v0, v11, v0, v13
	s_waitcnt lgkmcnt(20)
	;; [unrolled: 2-line block ×10, first 2 shown]
	v_add3_u32 v3, v38, v1, v43
	v_mov_b32_e32 v1, 0
	v_mov_b32_e32 v4, v1
	s_waitcnt lgkmcnt(1)
	v_add3_u32 v0, v44, v0, v46
	s_waitcnt lgkmcnt(0)
	v_add3_u32 v3, v45, v3, v47
	global_store_dwordx2 v1, v[0:1], s[6:7]
	global_store_dwordx2 v1, v[3:4], s[8:9]
.LBB1_402:
	s_or_b32 exec_lo, exec_lo, s4
	v_lshlrev_b32_e32 v0, 24, v2
	v_and_b32_e32 v1, 0xff, v64
	v_mov_b32_e32 v2, 8
	v_and_b32_e32 v3, 0xff, v39
	v_mov_b32_e32 v33, v20
	v_mov_b32_e32 v23, v60
	v_lshl_or_b32 v0, v1, 16, v0
	buffer_load_dword v1, off, s[0:3], 0    ; 4-byte Folded Reload
	v_mov_b32_e32 v27, v35
	s_mov_b32 s5, 0
	s_waitcnt vmcnt(0)
	v_lshlrev_b32_sdwa v1, v2, v1 dst_sel:DWORD dst_unused:UNUSED_PAD src0_sel:DWORD src1_sel:BYTE_0
	v_lshl_add_u32 v2, s28, 11, v41
	v_or3_b32 v20, v0, v1, v3
	s_clause 0x1
	buffer_load_dword v3, off, s[0:3], 0 offset:44
	buffer_load_dword v4, off, s[0:3], 0 offset:48
	v_mov_b32_e32 v1, 0
	s_waitcnt vmcnt(0)
	global_store_dwordx4 v[3:4], v[20:23], off
	s_clause 0x1
	buffer_load_dword v3, off, s[0:3], 0 offset:52
	buffer_load_dword v4, off, s[0:3], 0 offset:56
	s_waitcnt vmcnt(0)
	global_store_dwordx4 v[3:4], v[32:35], off
	s_clause 0x1
	buffer_load_dword v3, off, s[0:3], 0 offset:60
	buffer_load_dword v4, off, s[0:3], 0 offset:64
	s_waitcnt vmcnt(0)
	global_store_dwordx4 v[3:4], v[24:27], off
	.p2align	6
.LBB1_403:                              ; =>This Inner Loop Header: Depth=1
	ds_read_b32 v5, v40
	v_add_nc_u32_e32 v0, v2, v30
	v_add_nc_u32_e32 v6, 32, v30
	v_cmp_lt_u32_e32 vcc_lo, 0x44, v30
	v_add_nc_u32_e32 v40, 0x80, v40
	v_lshlrev_b64 v[3:4], 2, v[0:1]
	v_mov_b32_e32 v30, v6
	s_or_b32 s5, vcc_lo, s5
	v_add_co_u32 v3, s4, s34, v3
	v_add_co_ci_u32_e64 v4, null, s35, v4, s4
	s_waitcnt lgkmcnt(0)
	global_store_dword v[3:4], v5, off
	s_andn2_b32 exec_lo, exec_lo, s5
	s_cbranch_execnz .LBB1_403
; %bb.404:
	s_endpgm
	.section	.rodata,"a",@progbits
	.p2align	6, 0x0
	.amdhsa_kernel _Z22simulation_step_kernelbb
		.amdhsa_group_segment_fixed_size 17808
		.amdhsa_private_segment_fixed_size 112
		.amdhsa_kernarg_size 264
		.amdhsa_user_sgpr_count 6
		.amdhsa_user_sgpr_private_segment_buffer 1
		.amdhsa_user_sgpr_dispatch_ptr 0
		.amdhsa_user_sgpr_queue_ptr 0
		.amdhsa_user_sgpr_kernarg_segment_ptr 1
		.amdhsa_user_sgpr_dispatch_id 0
		.amdhsa_user_sgpr_flat_scratch_init 0
		.amdhsa_user_sgpr_private_segment_size 0
		.amdhsa_wavefront_size32 1
		.amdhsa_uses_dynamic_stack 0
		.amdhsa_system_sgpr_private_segment_wavefront_offset 1
		.amdhsa_system_sgpr_workgroup_id_x 1
		.amdhsa_system_sgpr_workgroup_id_y 1
		.amdhsa_system_sgpr_workgroup_id_z 0
		.amdhsa_system_sgpr_workgroup_info 0
		.amdhsa_system_vgpr_workitem_id 0
		.amdhsa_next_free_vgpr 128
		.amdhsa_next_free_sgpr 98
		.amdhsa_reserve_vcc 1
		.amdhsa_reserve_flat_scratch 0
		.amdhsa_float_round_mode_32 0
		.amdhsa_float_round_mode_16_64 0
		.amdhsa_float_denorm_mode_32 3
		.amdhsa_float_denorm_mode_16_64 3
		.amdhsa_dx10_clamp 1
		.amdhsa_ieee_mode 1
		.amdhsa_fp16_overflow 0
		.amdhsa_workgroup_processor_mode 1
		.amdhsa_memory_ordered 1
		.amdhsa_forward_progress 1
		.amdhsa_shared_vgpr_count 0
		.amdhsa_exception_fp_ieee_invalid_op 0
		.amdhsa_exception_fp_denorm_src 0
		.amdhsa_exception_fp_ieee_div_zero 0
		.amdhsa_exception_fp_ieee_overflow 0
		.amdhsa_exception_fp_ieee_underflow 0
		.amdhsa_exception_fp_ieee_inexact 0
		.amdhsa_exception_int_div_zero 0
	.end_amdhsa_kernel
	.text
.Lfunc_end1:
	.size	_Z22simulation_step_kernelbb, .Lfunc_end1-_Z22simulation_step_kernelbb
                                        ; -- End function
	.set _Z22simulation_step_kernelbb.num_vgpr, max(128, .L_Z17MT_generate_arrayv.num_vgpr)
	.set _Z22simulation_step_kernelbb.num_agpr, max(0, .L_Z17MT_generate_arrayv.num_agpr)
	.set _Z22simulation_step_kernelbb.numbered_sgpr, max(98, .L_Z17MT_generate_arrayv.numbered_sgpr)
	.set _Z22simulation_step_kernelbb.num_named_barrier, max(0, .L_Z17MT_generate_arrayv.num_named_barrier)
	.set _Z22simulation_step_kernelbb.private_seg_size, 112+max(.L_Z17MT_generate_arrayv.private_seg_size)
	.set _Z22simulation_step_kernelbb.uses_vcc, or(1, .L_Z17MT_generate_arrayv.uses_vcc)
	.set _Z22simulation_step_kernelbb.uses_flat_scratch, or(0, .L_Z17MT_generate_arrayv.uses_flat_scratch)
	.set _Z22simulation_step_kernelbb.has_dyn_sized_stack, or(0, .L_Z17MT_generate_arrayv.has_dyn_sized_stack)
	.set _Z22simulation_step_kernelbb.has_recursion, or(0, .L_Z17MT_generate_arrayv.has_recursion)
	.set _Z22simulation_step_kernelbb.has_indirect_call, or(0, .L_Z17MT_generate_arrayv.has_indirect_call)
	.section	.AMDGPU.csdata,"",@progbits
; Kernel info:
; codeLenInByte = 20248
; TotalNumSgprs: 100
; NumVgprs: 128
; ScratchSize: 112
; MemoryBound: 1
; FloatMode: 240
; IeeeMode: 1
; LDSByteSize: 17808 bytes/workgroup (compile time only)
; SGPRBlocks: 0
; VGPRBlocks: 15
; NumSGPRsForWavesPerEU: 100
; NumVGPRsForWavesPerEU: 128
; Occupancy: 8
; WaveLimiterHint : 1
; COMPUTE_PGM_RSRC2:SCRATCH_EN: 1
; COMPUTE_PGM_RSRC2:USER_SGPR: 6
; COMPUTE_PGM_RSRC2:TRAP_HANDLER: 0
; COMPUTE_PGM_RSRC2:TGID_X_EN: 1
; COMPUTE_PGM_RSRC2:TGID_Y_EN: 1
; COMPUTE_PGM_RSRC2:TGID_Z_EN: 0
; COMPUTE_PGM_RSRC2:TIDIG_COMP_CNT: 0
	.text
	.protected	_Z26sum_detector_scores_kernelv ; -- Begin function _Z26sum_detector_scores_kernelv
	.globl	_Z26sum_detector_scores_kernelv
	.p2align	8
	.type	_Z26sum_detector_scores_kernelv,@function
_Z26sum_detector_scores_kernelv:        ; @_Z26sum_detector_scores_kernelv
; %bb.0:
	s_getpc_b64 s[0:1]
	s_add_u32 s0, s0, detector@rel32@lo+28
	s_addc_u32 s1, s1, detector@rel32@hi+36
	s_load_dwordx2 s[0:1], s[0:1], 0x0
	s_waitcnt lgkmcnt(0)
	s_mul_i32 s7, s1, s0
	s_mov_b32 s0, exec_lo
	v_cmpx_gt_u32_e64 s7, v0
	s_cbranch_execz .LBB2_5
; %bb.1:
	s_and_b32 s8, s6, 3
	s_getpc_b64 s[0:1]
	s_add_u32 s0, s0, detector_totals_energy@rel32@lo+4
	s_addc_u32 s1, s1, detector_totals_energy@rel32@hi+12
	s_getpc_b64 s[2:3]
	s_add_u32 s2, s2, detector_totals_count@rel32@lo+4
	s_addc_u32 s3, s3, detector_totals_count@rel32@hi+12
	s_lshl_b32 s12, s8, 3
	s_getpc_b64 s[8:9]
	s_add_u32 s8, s8, detector_scores_energy@rel32@lo+4
	s_addc_u32 s9, s9, detector_scores_energy@rel32@hi+12
	s_getpc_b64 s[10:11]
	s_add_u32 s10, s10, detector_scores_count@rel32@lo+4
	s_addc_u32 s11, s11, detector_scores_count@rel32@hi+12
	s_cmp_lt_u32 s6, 4
	v_mov_b32_e32 v1, 0
	s_cselect_b32 s1, s1, s3
	s_cselect_b32 s0, s0, s2
	s_load_dword s2, s[4:5], 0xc
	s_load_dwordx2 s[0:1], s[0:1], s12 offset:0x0
	s_cselect_b32 s4, s8, s10
	s_cselect_b32 s3, s9, s11
	s_add_u32 s8, s4, s12
	s_mov_b32 s6, 0
	s_addc_u32 s9, s3, 0
	s_waitcnt lgkmcnt(0)
	s_and_b32 s10, s2, 0xffff
.LBB2_2:                                ; =>This Loop Header: Depth=1
                                        ;     Child Loop BB2_3 Depth 2
	v_mov_b32_e32 v4, 0
	v_lshlrev_b64 v[2:3], 2, v[0:1]
	v_mov_b32_e32 v5, 0
	s_mov_b64 s[2:3], 0
.LBB2_3:                                ;   Parent Loop BB2_2 Depth=1
                                        ; =>  This Inner Loop Header: Depth=2
	s_add_u32 s4, s8, s2
	s_addc_u32 s5, s9, s3
	s_add_u32 s2, s2, 0x200
	s_clause 0x3
	s_load_dwordx2 s[12:13], s[4:5], 0x0
	s_load_dwordx2 s[14:15], s[4:5], 0x20
	;; [unrolled: 1-line block ×4, first 2 shown]
	s_addc_u32 s3, s3, 0
	s_cmpk_eq_i32 s2, 0xa00
	s_waitcnt lgkmcnt(0)
	v_add_co_u32 v6, vcc_lo, s12, v2
	v_add_co_ci_u32_e64 v7, null, s13, v3, vcc_lo
	s_load_dwordx2 s[12:13], s[4:5], 0x80
	global_load_dword v8, v[6:7], off
	v_add_co_u32 v6, vcc_lo, s14, v2
	v_add_co_ci_u32_e64 v7, null, s15, v3, vcc_lo
	global_load_dword v10, v[6:7], off
	v_add_co_u32 v6, vcc_lo, s16, v2
	v_add_co_ci_u32_e64 v7, null, s17, v3, vcc_lo
	;; [unrolled: 3-line block ×3, first 2 shown]
	global_load_dword v12, v[6:7], off
	s_waitcnt lgkmcnt(0)
	v_add_co_u32 v6, vcc_lo, s12, v2
	v_add_co_ci_u32_e64 v7, null, s13, v3, vcc_lo
	s_clause 0x3
	s_load_dwordx2 s[14:15], s[4:5], 0xa0
	s_load_dwordx2 s[16:17], s[4:5], 0xc0
	;; [unrolled: 1-line block ×4, first 2 shown]
	global_load_dword v13, v[6:7], off
	s_waitcnt lgkmcnt(0)
	v_add_co_u32 v6, vcc_lo, s14, v2
	v_add_co_ci_u32_e64 v7, null, s15, v3, vcc_lo
	global_load_dword v14, v[6:7], off
	v_add_co_u32 v6, vcc_lo, s16, v2
	v_add_co_ci_u32_e64 v7, null, s17, v3, vcc_lo
	global_load_dword v15, v[6:7], off
	v_add_co_u32 v6, vcc_lo, s18, v2
	v_add_co_ci_u32_e64 v7, null, s19, v3, vcc_lo
	global_load_dword v16, v[6:7], off
	v_add_co_u32 v6, vcc_lo, s12, v2
	v_add_co_ci_u32_e64 v7, null, s13, v3, vcc_lo
	s_clause 0x3
	s_load_dwordx2 s[14:15], s[4:5], 0x120
	s_load_dwordx2 s[16:17], s[4:5], 0x140
	;; [unrolled: 1-line block ×4, first 2 shown]
	global_load_dword v17, v[6:7], off
	s_waitcnt lgkmcnt(0)
	v_add_co_u32 v6, vcc_lo, s14, v2
	v_add_co_ci_u32_e64 v7, null, s15, v3, vcc_lo
	global_load_dword v18, v[6:7], off
	v_add_co_u32 v6, vcc_lo, s16, v2
	v_add_co_ci_u32_e64 v7, null, s17, v3, vcc_lo
	global_load_dword v19, v[6:7], off
	;; [unrolled: 3-line block ×3, first 2 shown]
	v_add_co_u32 v6, vcc_lo, s12, v2
	v_add_co_ci_u32_e64 v7, null, s13, v3, vcc_lo
	s_clause 0x2
	s_load_dwordx2 s[14:15], s[4:5], 0x1a0
	s_load_dwordx2 s[16:17], s[4:5], 0x1c0
	;; [unrolled: 1-line block ×3, first 2 shown]
	global_load_dword v21, v[6:7], off
	s_waitcnt lgkmcnt(0)
	v_add_co_u32 v6, vcc_lo, s14, v2
	v_add_co_ci_u32_e64 v7, null, s15, v3, vcc_lo
	global_load_dword v22, v[6:7], off
	v_add_co_u32 v6, vcc_lo, s16, v2
	v_add_co_ci_u32_e64 v7, null, s17, v3, vcc_lo
	global_load_dword v23, v[6:7], off
	s_waitcnt vmcnt(14)
	v_cvt_f64_f32_e32 v[6:7], v8
	v_add_co_u32 v8, vcc_lo, s4, v2
	v_add_co_ci_u32_e64 v9, null, s5, v3, vcc_lo
	global_load_dword v24, v[8:9], off
	s_waitcnt vmcnt(14)
	v_cvt_f64_f32_e32 v[8:9], v10
	v_add_f64 v[4:5], v[4:5], v[6:7]
	s_waitcnt vmcnt(13)
	v_cvt_f64_f32_e32 v[6:7], v11
	v_add_f64 v[4:5], v[4:5], v[8:9]
	;; [unrolled: 3-line block ×15, first 2 shown]
	v_add_f64 v[4:5], v[4:5], v[8:9]
	s_cbranch_scc0 .LBB2_3
; %bb.4:                                ;   in Loop: Header=BB2_2 Depth=1
	v_lshlrev_b64 v[2:3], 3, v[0:1]
	v_add_nc_u32_e32 v0, s10, v0
	v_add_co_u32 v2, vcc_lo, s0, v2
	v_add_co_ci_u32_e64 v3, null, s1, v3, vcc_lo
	v_cmp_le_u32_e32 vcc_lo, s7, v0
	global_load_dwordx2 v[6:7], v[2:3], off
	s_or_b32 s6, vcc_lo, s6
	s_waitcnt vmcnt(0)
	v_add_f64 v[4:5], v[4:5], v[6:7]
	global_store_dwordx2 v[2:3], v[4:5], off
	s_andn2_b32 exec_lo, exec_lo, s6
	s_cbranch_execnz .LBB2_2
.LBB2_5:
	s_endpgm
	.section	.rodata,"a",@progbits
	.p2align	6, 0x0
	.amdhsa_kernel _Z26sum_detector_scores_kernelv
		.amdhsa_group_segment_fixed_size 0
		.amdhsa_private_segment_fixed_size 0
		.amdhsa_kernarg_size 256
		.amdhsa_user_sgpr_count 6
		.amdhsa_user_sgpr_private_segment_buffer 1
		.amdhsa_user_sgpr_dispatch_ptr 0
		.amdhsa_user_sgpr_queue_ptr 0
		.amdhsa_user_sgpr_kernarg_segment_ptr 1
		.amdhsa_user_sgpr_dispatch_id 0
		.amdhsa_user_sgpr_flat_scratch_init 0
		.amdhsa_user_sgpr_private_segment_size 0
		.amdhsa_wavefront_size32 1
		.amdhsa_uses_dynamic_stack 0
		.amdhsa_system_sgpr_private_segment_wavefront_offset 0
		.amdhsa_system_sgpr_workgroup_id_x 1
		.amdhsa_system_sgpr_workgroup_id_y 0
		.amdhsa_system_sgpr_workgroup_id_z 0
		.amdhsa_system_sgpr_workgroup_info 0
		.amdhsa_system_vgpr_workitem_id 0
		.amdhsa_next_free_vgpr 25
		.amdhsa_next_free_sgpr 20
		.amdhsa_reserve_vcc 1
		.amdhsa_reserve_flat_scratch 0
		.amdhsa_float_round_mode_32 0
		.amdhsa_float_round_mode_16_64 0
		.amdhsa_float_denorm_mode_32 3
		.amdhsa_float_denorm_mode_16_64 3
		.amdhsa_dx10_clamp 1
		.amdhsa_ieee_mode 1
		.amdhsa_fp16_overflow 0
		.amdhsa_workgroup_processor_mode 1
		.amdhsa_memory_ordered 1
		.amdhsa_forward_progress 1
		.amdhsa_shared_vgpr_count 0
		.amdhsa_exception_fp_ieee_invalid_op 0
		.amdhsa_exception_fp_denorm_src 0
		.amdhsa_exception_fp_ieee_div_zero 0
		.amdhsa_exception_fp_ieee_overflow 0
		.amdhsa_exception_fp_ieee_underflow 0
		.amdhsa_exception_fp_ieee_inexact 0
		.amdhsa_exception_int_div_zero 0
	.end_amdhsa_kernel
	.text
.Lfunc_end2:
	.size	_Z26sum_detector_scores_kernelv, .Lfunc_end2-_Z26sum_detector_scores_kernelv
                                        ; -- End function
	.set _Z26sum_detector_scores_kernelv.num_vgpr, 25
	.set _Z26sum_detector_scores_kernelv.num_agpr, 0
	.set _Z26sum_detector_scores_kernelv.numbered_sgpr, 20
	.set _Z26sum_detector_scores_kernelv.num_named_barrier, 0
	.set _Z26sum_detector_scores_kernelv.private_seg_size, 0
	.set _Z26sum_detector_scores_kernelv.uses_vcc, 1
	.set _Z26sum_detector_scores_kernelv.uses_flat_scratch, 0
	.set _Z26sum_detector_scores_kernelv.has_dyn_sized_stack, 0
	.set _Z26sum_detector_scores_kernelv.has_recursion, 0
	.set _Z26sum_detector_scores_kernelv.has_indirect_call, 0
	.section	.AMDGPU.csdata,"",@progbits
; Kernel info:
; codeLenInByte = 1132
; TotalNumSgprs: 22
; NumVgprs: 25
; ScratchSize: 0
; MemoryBound: 0
; FloatMode: 240
; IeeeMode: 1
; LDSByteSize: 0 bytes/workgroup (compile time only)
; SGPRBlocks: 0
; VGPRBlocks: 3
; NumSGPRsForWavesPerEU: 22
; NumVGPRsForWavesPerEU: 25
; Occupancy: 16
; WaveLimiterHint : 0
; COMPUTE_PGM_RSRC2:SCRATCH_EN: 0
; COMPUTE_PGM_RSRC2:USER_SGPR: 6
; COMPUTE_PGM_RSRC2:TRAP_HANDLER: 0
; COMPUTE_PGM_RSRC2:TGID_X_EN: 1
; COMPUTE_PGM_RSRC2:TGID_Y_EN: 0
; COMPUTE_PGM_RSRC2:TGID_Z_EN: 0
; COMPUTE_PGM_RSRC2:TIDIG_COMP_CNT: 0
	.text
	.p2alignl 6, 3214868480
	.fill 48, 4, 3214868480
	.section	.AMDGPU.gpr_maximums,"",@progbits
	.set amdgpu.max_num_vgpr, 32
	.set amdgpu.max_num_agpr, 0
	.set amdgpu.max_num_sgpr, 32
	.text
	.protected	stack                   ; @stack
	.type	stack,@object
	.section	.rodata,"a",@progbits
	.globl	stack
	.p2align	3, 0x0
stack:
	.zero	24
	.size	stack, 24

	.protected	total_list_depth        ; @total_list_depth
	.type	total_list_depth,@object
	.globl	total_list_depth
	.p2align	3, 0x0
total_list_depth:
	.quad	0
	.size	total_list_depth, 8

	.protected	total_num_inner_iterations ; @total_num_inner_iterations
	.type	total_num_inner_iterations,@object
	.globl	total_num_inner_iterations
	.p2align	3, 0x0
total_num_inner_iterations:
	.quad	0
	.size	total_num_inner_iterations, 8

	.protected	detector_scores_count   ; @detector_scores_count
	.type	detector_scores_count,@object
	.globl	detector_scores_count
	.p2align	4, 0x0
detector_scores_count:
	.zero	2560
	.size	detector_scores_count, 2560

	.protected	detector_scores_energy  ; @detector_scores_energy
	.type	detector_scores_energy,@object
	.globl	detector_scores_energy
	.p2align	4, 0x0
detector_scores_energy:
	.zero	2560
	.size	detector_scores_energy, 2560

	.protected	detector_totals_count   ; @detector_totals_count
	.type	detector_totals_count,@object
	.globl	detector_totals_count
	.p2align	4, 0x0
detector_totals_count:
	.zero	32
	.size	detector_totals_count, 32

	.protected	detector_totals_energy  ; @detector_totals_energy
	.type	detector_totals_energy,@object
	.globl	detector_totals_energy
	.p2align	4, 0x0
detector_totals_energy:
	.zero	32
	.size	detector_totals_energy, 32

	.protected	total_weights           ; @total_weights
	.type	total_weights,@object
	.globl	total_weights
	.p2align	3, 0x0
total_weights:
	.quad	0
	.size	total_weights, 8

	.protected	total_step_counts       ; @total_step_counts
	.type	total_step_counts,@object
	.globl	total_step_counts
	.p2align	3, 0x0
total_step_counts:
	.quad	0
	.size	total_step_counts, 8

	.protected	MT_statuses             ; @MT_statuses
	.type	MT_statuses,@object
	.globl	MT_statuses
	.p2align	3, 0x0
MT_statuses:
	.quad	0
	.size	MT_statuses, 8

	.protected	MT_params               ; @MT_params
	.type	MT_params,@object
	.globl	MT_params
	.p2align	3, 0x0
MT_params:
	.quad	0
	.size	MT_params, 8

	.protected	MT_tables               ; @MT_tables
	.type	MT_tables,@object
	.globl	MT_tables
	.p2align	3, 0x0
MT_tables:
	.quad	0
	.size	MT_tables, 8

	.protected	detector                ; @detector
	.type	detector,@object
	.globl	detector
	.p2align	3, 0x0
detector:
	.zero	32
	.size	detector, 32

	.protected	source                  ; @source
	.type	source,@object
	.globl	source
	.p2align	3, 0x0
source:
	.zero	80
	.size	source, 80

	.protected	phantom                 ; @phantom
	.type	phantom,@object
	.globl	phantom
	.p2align	3, 0x0
phantom:
	.zero	40
	.size	phantom, 40

	.protected	region_data             ; @region_data
	.type	region_data,@object
	.globl	region_data
	.p2align	3, 0x0
region_data:
	.quad	0
	.size	region_data, 8

	.protected	ge                      ; @ge
	.type	ge,@object
	.globl	ge
	.p2align	3, 0x0
ge:
	.quad	0
	.size	ge, 8

	.protected	gmfp                    ; @gmfp
	.type	gmfp,@object
	.globl	gmfp
	.p2align	3, 0x0
gmfp:
	.quad	0
	.size	gmfp, 8

	.protected	gbr1                    ; @gbr1
	.type	gbr1,@object
	.globl	gbr1
	.p2align	3, 0x0
gbr1:
	.quad	0
	.size	gbr1, 8

	.protected	gbr2                    ; @gbr2
	.type	gbr2,@object
	.globl	gbr2
	.p2align	3, 0x0
gbr2:
	.quad	0
	.size	gbr2, 8

	.protected	cohe                    ; @cohe
	.type	cohe,@object
	.globl	cohe
	.p2align	3, 0x0
cohe:
	.quad	0
	.size	cohe, 8

	.protected	pmax                    ; @pmax
	.type	pmax,@object
	.globl	pmax
	.p2align	3, 0x0
pmax:
	.quad	0
	.size	pmax, 8

	.protected	rayleigh_data           ; @rayleigh_data
	.type	rayleigh_data,@object
	.globl	rayleigh_data
	.p2align	3, 0x0
rayleigh_data:
	.quad	0
	.size	rayleigh_data, 8

	.protected	i_array                 ; @i_array
	.type	i_array,@object
	.globl	i_array
	.p2align	3, 0x0
i_array:
	.quad	0
	.size	i_array, 8

	.type	__hip_cuid_fcf7008f5b4c13c0,@object ; @__hip_cuid_fcf7008f5b4c13c0
	.section	.bss,"aw",@nobits
	.globl	__hip_cuid_fcf7008f5b4c13c0
__hip_cuid_fcf7008f5b4c13c0:
	.byte	0                               ; 0x0
	.size	__hip_cuid_fcf7008f5b4c13c0, 1

	.ident	"AMD clang version 22.0.0git (https://github.com/RadeonOpenCompute/llvm-project roc-7.2.4 26084 f58b06dce1f9c15707c5f808fd002e18c2accf7e)"
	.section	".note.GNU-stack","",@progbits
	.addrsig
	.addrsig_sym stack
	.addrsig_sym total_list_depth
	.addrsig_sym total_num_inner_iterations
	.addrsig_sym detector_scores_count
	.addrsig_sym detector_scores_energy
	.addrsig_sym detector_totals_count
	.addrsig_sym detector_totals_energy
	.addrsig_sym total_weights
	.addrsig_sym total_step_counts
	.addrsig_sym MT_statuses
	.addrsig_sym MT_params
	.addrsig_sym MT_tables
	.addrsig_sym detector
	.addrsig_sym source
	.addrsig_sym phantom
	.addrsig_sym region_data
	.addrsig_sym ge
	.addrsig_sym gmfp
	.addrsig_sym gbr1
	.addrsig_sym gbr2
	.addrsig_sym cohe
	.addrsig_sym pmax
	.addrsig_sym rayleigh_data
	.addrsig_sym i_array
	.addrsig_sym __hip_cuid_fcf7008f5b4c13c0
	.amdgpu_metadata
---
amdhsa.kernels:
  - .args:
      - .offset:         0
        .size:           1
        .value_kind:     by_value
      - .offset:         1
        .size:           1
        .value_kind:     by_value
      - .offset:         8
        .size:           4
        .value_kind:     hidden_block_count_x
      - .offset:         12
        .size:           4
        .value_kind:     hidden_block_count_y
      - .offset:         16
        .size:           4
        .value_kind:     hidden_block_count_z
      - .offset:         20
        .size:           2
        .value_kind:     hidden_group_size_x
      - .offset:         22
        .size:           2
        .value_kind:     hidden_group_size_y
      - .offset:         24
        .size:           2
        .value_kind:     hidden_group_size_z
      - .offset:         26
        .size:           2
        .value_kind:     hidden_remainder_x
      - .offset:         28
        .size:           2
        .value_kind:     hidden_remainder_y
      - .offset:         30
        .size:           2
        .value_kind:     hidden_remainder_z
      - .offset:         48
        .size:           8
        .value_kind:     hidden_global_offset_x
      - .offset:         56
        .size:           8
        .value_kind:     hidden_global_offset_y
      - .offset:         64
        .size:           8
        .value_kind:     hidden_global_offset_z
      - .offset:         72
        .size:           2
        .value_kind:     hidden_grid_dims
    .group_segment_fixed_size: 17808
    .kernarg_segment_align: 8
    .kernarg_segment_size: 264
    .language:       OpenCL C
    .language_version:
      - 2
      - 0
    .max_flat_workgroup_size: 1024
    .name:           _Z22simulation_step_kernelbb
    .private_segment_fixed_size: 112
    .sgpr_count:     100
    .sgpr_spill_count: 0
    .symbol:         _Z22simulation_step_kernelbb.kd
    .uniform_work_group_size: 1
    .uses_dynamic_stack: false
    .vgpr_count:     128
    .vgpr_spill_count: 26
    .wavefront_size: 32
    .workgroup_processor_mode: 1
  - .args:
      - .offset:         0
        .size:           4
        .value_kind:     hidden_block_count_x
      - .offset:         4
        .size:           4
        .value_kind:     hidden_block_count_y
      - .offset:         8
        .size:           4
        .value_kind:     hidden_block_count_z
      - .offset:         12
        .size:           2
        .value_kind:     hidden_group_size_x
      - .offset:         14
        .size:           2
        .value_kind:     hidden_group_size_y
      - .offset:         16
        .size:           2
        .value_kind:     hidden_group_size_z
      - .offset:         18
        .size:           2
        .value_kind:     hidden_remainder_x
      - .offset:         20
        .size:           2
        .value_kind:     hidden_remainder_y
      - .offset:         22
        .size:           2
        .value_kind:     hidden_remainder_z
      - .offset:         40
        .size:           8
        .value_kind:     hidden_global_offset_x
      - .offset:         48
        .size:           8
        .value_kind:     hidden_global_offset_y
      - .offset:         56
        .size:           8
        .value_kind:     hidden_global_offset_z
      - .offset:         64
        .size:           2
        .value_kind:     hidden_grid_dims
    .group_segment_fixed_size: 0
    .kernarg_segment_align: 8
    .kernarg_segment_size: 256
    .language:       OpenCL C
    .language_version:
      - 2
      - 0
    .max_flat_workgroup_size: 1024
    .name:           _Z26sum_detector_scores_kernelv
    .private_segment_fixed_size: 0
    .sgpr_count:     22
    .sgpr_spill_count: 0
    .symbol:         _Z26sum_detector_scores_kernelv.kd
    .uniform_work_group_size: 1
    .uses_dynamic_stack: false
    .vgpr_count:     25
    .vgpr_spill_count: 0
    .wavefront_size: 32
    .workgroup_processor_mode: 1
amdhsa.target:   amdgcn-amd-amdhsa--gfx1030
amdhsa.version:
  - 1
  - 2
...

	.end_amdgpu_metadata
